;; amdgpu-corpus repo=ROCm/rocFFT kind=compiled arch=gfx1030 opt=O3
	.text
	.amdgcn_target "amdgcn-amd-amdhsa--gfx1030"
	.amdhsa_code_object_version 6
	.protected	bluestein_single_back_len1001_dim1_sp_op_CI_CI ; -- Begin function bluestein_single_back_len1001_dim1_sp_op_CI_CI
	.globl	bluestein_single_back_len1001_dim1_sp_op_CI_CI
	.p2align	8
	.type	bluestein_single_back_len1001_dim1_sp_op_CI_CI,@function
bluestein_single_back_len1001_dim1_sp_op_CI_CI: ; @bluestein_single_back_len1001_dim1_sp_op_CI_CI
; %bb.0:
	s_load_dwordx4 s[0:3], s[4:5], 0x28
	v_mul_u32_u24_e32 v1, 0x2d1, v0
	v_mov_b32_e32 v81, 0
	v_lshrrev_b32_e32 v1, 16, v1
	v_lshl_add_u32 v80, s6, 1, v1
	s_waitcnt lgkmcnt(0)
	v_cmp_gt_u64_e32 vcc_lo, s[0:1], v[80:81]
	s_and_saveexec_b32 s0, vcc_lo
	s_cbranch_execz .LBB0_23
; %bb.1:
	v_mul_lo_u16 v2, 0x5b, v1
	s_clause 0x1
	s_load_dwordx2 s[14:15], s[4:5], 0x0
	s_load_dwordx2 s[12:13], s[4:5], 0x38
	v_and_b32_e32 v1, 1, v1
	v_sub_nc_u16 v0, v0, v2
	v_cmp_eq_u32_e32 vcc_lo, 1, v1
	v_and_b32_e32 v85, 0xffff, v0
	v_cndmask_b32_e64 v52, 0, 0x3e9, vcc_lo
	v_cmp_gt_u16_e32 vcc_lo, 0x4d, v0
	v_lshlrev_b32_e32 v86, 3, v85
	v_lshlrev_b32_e32 v87, 3, v52
	s_and_saveexec_b32 s1, vcc_lo
	s_cbranch_execz .LBB0_3
; %bb.2:
	s_load_dwordx2 s[6:7], s[4:5], 0x18
	s_waitcnt lgkmcnt(0)
	v_add_co_u32 v18, s0, s14, v86
	v_add_co_ci_u32_e64 v19, null, s15, 0, s0
	v_add_nc_u32_e32 v55, v87, v86
	v_lshl_add_u32 v56, v85, 3, v87
	v_add_nc_u32_e32 v57, 0x400, v55
	v_add_nc_u32_e32 v58, 0x800, v55
	;; [unrolled: 1-line block ×3, first 2 shown]
	s_load_dwordx4 s[8:11], s[6:7], 0x0
	s_clause 0x3
	global_load_dwordx2 v[4:5], v86, s[14:15]
	global_load_dwordx2 v[6:7], v86, s[14:15] offset:616
	global_load_dwordx2 v[8:9], v86, s[14:15] offset:1232
	;; [unrolled: 1-line block ×3, first 2 shown]
	s_waitcnt lgkmcnt(0)
	v_mad_u64_u32 v[0:1], null, s10, v80, 0
	v_mad_u64_u32 v[2:3], null, s8, v85, 0
	s_mul_i32 s6, s9, 0x268
	s_mul_hi_u32 s7, s8, 0x268
	s_add_i32 s7, s7, s6
	v_mad_u64_u32 v[12:13], null, s11, v80, v[1:2]
	v_add_co_u32 v13, s0, 0x800, v18
	v_add_co_ci_u32_e64 v14, s0, 0, v19, s0
	v_mov_b32_e32 v1, v12
	s_clause 0x2
	global_load_dwordx2 v[20:21], v[13:14], off offset:416
	global_load_dwordx2 v[22:23], v[13:14], off offset:1032
	;; [unrolled: 1-line block ×3, first 2 shown]
	v_lshlrev_b64 v[0:1], 3, v[0:1]
	s_waitcnt vmcnt(6)
	v_mad_u64_u32 v[15:16], null, s9, v85, v[3:4]
	v_add_co_u32 v16, s0, 0x1000, v18
	v_add_co_ci_u32_e64 v17, s0, 0, v19, s0
	v_add_co_u32 v18, s0, 0x1800, v18
	v_mov_b32_e32 v3, v15
	v_add_co_ci_u32_e64 v19, s0, 0, v19, s0
	v_add_co_u32 v0, s0, s2, v0
	v_lshlrev_b64 v[2:3], 3, v[2:3]
	v_add_co_ci_u32_e64 v1, s0, s3, v1, s0
	s_mul_i32 s2, s8, 0x268
	s_clause 0x3
	global_load_dwordx2 v[14:15], v[16:17], off offset:216
	global_load_dwordx2 v[24:25], v[16:17], off offset:832
	;; [unrolled: 1-line block ×4, first 2 shown]
	v_add_co_u32 v0, s0, v0, v2
	v_add_co_ci_u32_e64 v1, s0, v1, v3, s0
	v_add_co_u32 v2, s0, v0, s2
	v_add_co_ci_u32_e64 v3, s0, s7, v1, s0
	global_load_dwordx2 v[0:1], v[0:1], off
	v_add_co_u32 v26, s0, v2, s2
	v_add_co_ci_u32_e64 v27, s0, s7, v3, s0
	v_add_co_u32 v30, s0, v26, s2
	v_add_co_ci_u32_e64 v31, s0, s7, v27, s0
	;; [unrolled: 2-line block ×3, first 2 shown]
	s_clause 0x2
	global_load_dwordx2 v[2:3], v[2:3], off
	global_load_dwordx2 v[26:27], v[26:27], off
	;; [unrolled: 1-line block ×3, first 2 shown]
	v_add_co_u32 v34, s0, v32, s2
	v_add_co_ci_u32_e64 v35, s0, s7, v33, s0
	global_load_dwordx2 v[32:33], v[32:33], off
	v_add_co_u32 v36, s0, v34, s2
	v_add_co_ci_u32_e64 v37, s0, s7, v35, s0
	global_load_dwordx2 v[34:35], v[34:35], off
	;; [unrolled: 3-line block ×8, first 2 shown]
	s_clause 0x1
	global_load_dwordx2 v[50:51], v[18:19], off offset:632
	global_load_dwordx2 v[18:19], v[18:19], off offset:1248
	global_load_dwordx2 v[48:49], v[48:49], off
	s_waitcnt vmcnt(14)
	v_mul_f32_e32 v53, v1, v5
	v_mul_f32_e32 v54, v0, v5
	v_fmac_f32_e32 v53, v0, v4
	v_fma_f32 v54, v1, v4, -v54
	ds_write_b64 v56, v[53:54]
	s_waitcnt vmcnt(13)
	v_mul_f32_e32 v0, v3, v7
	v_mul_f32_e32 v7, v2, v7
	s_waitcnt vmcnt(12)
	v_mul_f32_e32 v5, v27, v9
	v_mul_f32_e32 v9, v26, v9
	v_fmac_f32_e32 v0, v2, v6
	v_fma_f32 v1, v3, v6, -v7
	v_fmac_f32_e32 v5, v26, v8
	v_fma_f32 v6, v27, v8, -v9
	s_waitcnt vmcnt(11)
	v_mul_f32_e32 v2, v31, v11
	v_mul_f32_e32 v3, v30, v11
	v_add_nc_u32_e32 v26, 0x1400, v55
	s_waitcnt vmcnt(9)
	v_mul_f32_e32 v4, v35, v23
	ds_write2_b64 v55, v[0:1], v[5:6] offset0:77 offset1:154
	v_mul_f32_e32 v0, v33, v21
	v_mul_f32_e32 v1, v32, v21
	;; [unrolled: 1-line block ×3, first 2 shown]
	s_waitcnt vmcnt(8)
	v_mul_f32_e32 v6, v37, v13
	v_mul_f32_e32 v7, v36, v13
	v_fmac_f32_e32 v2, v30, v10
	v_fma_f32 v3, v31, v10, -v3
	v_fmac_f32_e32 v0, v32, v20
	s_waitcnt vmcnt(7)
	v_mul_f32_e32 v8, v39, v15
	v_mul_f32_e32 v9, v38, v15
	v_fmac_f32_e32 v6, v36, v12
	v_fma_f32 v7, v37, v12, -v7
	v_fma_f32 v1, v33, v20, -v1
	s_waitcnt vmcnt(6)
	v_mul_f32_e32 v10, v41, v25
	v_mul_f32_e32 v11, v40, v25
	v_fmac_f32_e32 v8, v38, v14
	v_fma_f32 v9, v39, v14, -v9
	v_fmac_f32_e32 v4, v34, v22
	s_waitcnt vmcnt(5)
	v_mul_f32_e32 v12, v43, v17
	v_mul_f32_e32 v13, v42, v17
	v_fma_f32 v5, v35, v22, -v5
	v_fmac_f32_e32 v10, v40, v24
	v_fma_f32 v11, v41, v24, -v11
	s_waitcnt vmcnt(4)
	v_mul_f32_e32 v14, v45, v29
	v_mul_f32_e32 v15, v44, v29
	v_fmac_f32_e32 v12, v42, v16
	v_fma_f32 v13, v43, v16, -v13
	s_waitcnt vmcnt(2)
	v_mul_f32_e32 v16, v47, v51
	v_mul_f32_e32 v17, v46, v51
	s_waitcnt vmcnt(0)
	v_mul_f32_e32 v20, v49, v19
	v_mul_f32_e32 v19, v48, v19
	v_fmac_f32_e32 v14, v44, v28
	v_fma_f32 v15, v45, v28, -v15
	v_fmac_f32_e32 v16, v46, v50
	v_fma_f32 v17, v47, v50, -v17
	;; [unrolled: 2-line block ×3, first 2 shown]
	v_add_nc_u32_e32 v18, 0x1800, v55
	ds_write2_b64 v57, v[2:3], v[0:1] offset0:103 offset1:180
	ds_write2_b64 v58, v[4:5], v[6:7] offset0:129 offset1:206
	;; [unrolled: 1-line block ×5, first 2 shown]
.LBB0_3:
	s_or_b32 exec_lo, exec_lo, s1
	v_mov_b32_e32 v0, 0
	v_mov_b32_e32 v1, 0
	s_waitcnt lgkmcnt(0)
	s_barrier
	buffer_gl0_inv
                                        ; implicit-def: $vgpr4
                                        ; implicit-def: $vgpr26
                                        ; implicit-def: $vgpr10
                                        ; implicit-def: $vgpr14
                                        ; implicit-def: $vgpr18
                                        ; implicit-def: $vgpr22
	s_and_saveexec_b32 s0, vcc_lo
	s_cbranch_execz .LBB0_5
; %bb.4:
	v_lshl_add_u32 v24, v52, 3, v86
	v_add_nc_u32_e32 v4, 0x800, v24
	v_add_nc_u32_e32 v5, 0xc00, v24
	;; [unrolled: 1-line block ×4, first 2 shown]
	ds_read2_b64 v[0:3], v24 offset1:77
	ds_read2_b64 v[20:23], v24 offset0:154 offset1:231
	ds_read2_b64 v[16:19], v4 offset0:52 offset1:129
	;; [unrolled: 1-line block ×5, first 2 shown]
	ds_read_b64 v[26:27], v24 offset:7392
.LBB0_5:
	s_or_b32 exec_lo, exec_lo, s0
	s_waitcnt lgkmcnt(0)
	v_sub_f32_e32 v43, v2, v26
	v_sub_f32_e32 v42, v3, v27
	v_add_f32_e32 v57, v27, v3
	v_sub_f32_e32 v45, v20, v6
	v_add_f32_e32 v56, v26, v2
	v_mul_f32_e32 v30, 0xbeedf032, v43
	v_mul_f32_e32 v37, 0xbf52af12, v43
	;; [unrolled: 1-line block ×3, first 2 shown]
	v_add_f32_e32 v59, v7, v21
	v_sub_f32_e32 v46, v21, v7
	v_mul_f32_e32 v34, 0xbf52af12, v42
	v_fma_f32 v25, 0x3f62ad3f, v57, -v30
	v_mul_f32_e32 v31, 0xbf52af12, v45
	v_fma_f32 v33, 0x3f116cb1, v57, -v37
	v_sub_f32_e32 v89, v22, v4
	v_add_f32_e32 v58, v6, v20
	v_fmamk_f32 v24, v56, 0x3f62ad3f, v28
	v_mul_f32_e32 v29, 0xbf52af12, v46
	v_fmamk_f32 v32, v56, 0x3f116cb1, v34
	v_add_f32_e32 v25, v25, v1
	v_fma_f32 v36, 0x3f116cb1, v59, -v31
	v_add_f32_e32 v39, v33, v1
	v_sub_f32_e32 v47, v23, v5
	v_add_f32_e32 v65, v5, v23
	v_mul_f32_e32 v33, 0xbf7e222b, v89
	v_sub_f32_e32 v116, v16, v10
	v_add_f32_e32 v24, v24, v0
	v_fmamk_f32 v35, v58, 0x3f116cb1, v29
	v_add_f32_e32 v38, v32, v0
	v_add_f32_e32 v25, v36, v25
	;; [unrolled: 1-line block ×3, first 2 shown]
	v_mul_f32_e32 v32, 0xbf7e222b, v47
	v_sub_f32_e32 v115, v17, v11
	v_fma_f32 v44, 0x3df6dbef, v65, -v33
	v_add_f32_e32 v70, v11, v17
	v_mul_f32_e32 v36, 0xbf6f5d39, v116
	v_sub_f32_e32 v122, v18, v8
	v_add_f32_e32 v24, v35, v24
	v_mul_f32_e32 v48, 0xbf6f5d39, v46
	v_mul_f32_e32 v51, 0xbf6f5d39, v45
	v_fmamk_f32 v41, v63, 0x3df6dbef, v32
	v_add_f32_e32 v69, v10, v16
	v_mul_f32_e32 v35, 0xbf6f5d39, v115
	v_add_f32_e32 v25, v44, v25
	v_sub_f32_e32 v121, v19, v9
	v_fma_f32 v44, 0xbeb58ec6, v70, -v36
	v_add_f32_e32 v71, v9, v19
	v_mul_f32_e32 v50, 0xbf29c268, v122
	v_fmamk_f32 v40, v58, 0xbeb58ec6, v48
	v_add_f32_e32 v24, v41, v24
	v_fmamk_f32 v41, v69, 0xbeb58ec6, v35
	v_add_f32_e32 v72, v8, v18
	v_mul_f32_e32 v49, 0xbf29c268, v121
	v_add_f32_e32 v25, v44, v25
	v_sub_f32_e32 v128, v13, v15
	v_fma_f32 v44, 0xbf3f9e67, v71, -v50
	v_fma_f32 v55, 0xbeb58ec6, v59, -v51
	v_mul_f32_e32 v61, 0xbe750f2a, v47
	v_mul_f32_e32 v64, 0xbe750f2a, v89
	v_add_f32_e32 v24, v41, v24
	v_fmamk_f32 v41, v72, 0xbf3f9e67, v49
	v_sub_f32_e32 v129, v12, v14
	v_add_f32_e32 v73, v14, v12
	v_mul_f32_e32 v53, 0xbe750f2a, v128
	v_add_f32_e32 v25, v44, v25
	v_add_f32_e32 v38, v40, v38
	;; [unrolled: 1-line block ×3, first 2 shown]
	v_fmamk_f32 v40, v63, 0xbf788fa5, v61
	v_fma_f32 v44, 0xbf788fa5, v65, -v64
	v_mul_f32_e32 v62, 0x3f29c268, v115
	v_mul_f32_e32 v66, 0x3f29c268, v116
	v_add_f32_e32 v74, v15, v13
	v_mul_f32_e32 v54, 0xbe750f2a, v129
	v_add_f32_e32 v24, v41, v24
	v_fmamk_f32 v41, v73, 0xbf788fa5, v53
	v_add_f32_e32 v38, v40, v38
	v_add_f32_e32 v39, v44, v39
	v_fmamk_f32 v40, v69, 0xbf3f9e67, v62
	v_mul_f32_e32 v55, 0x3f7e222b, v121
	v_fma_f32 v44, 0xbf3f9e67, v70, -v66
	v_mul_f32_e32 v67, 0x3f7e222b, v122
	v_fma_f32 v60, 0xbf788fa5, v74, -v54
	v_add_f32_e32 v24, v41, v24
	v_add_f32_e32 v38, v40, v38
	v_fmamk_f32 v40, v72, 0x3df6dbef, v55
	v_add_f32_e32 v39, v44, v39
	v_fma_f32 v41, 0x3df6dbef, v71, -v67
	v_mul_f32_e32 v77, 0xbf7e222b, v42
	v_mul_f32_e32 v82, 0xbf7e222b, v43
	v_add_f32_e32 v25, v60, v25
	v_add_f32_e32 v38, v40, v38
	v_add_f32_e32 v39, v41, v39
	v_mul_f32_e32 v60, 0x3eedf032, v128
	v_fmamk_f32 v40, v56, 0x3df6dbef, v77
	v_mul_f32_e32 v79, 0xbe750f2a, v46
	v_fma_f32 v41, 0x3df6dbef, v57, -v82
	v_mul_f32_e32 v83, 0xbe750f2a, v45
	v_fmamk_f32 v44, v73, 0x3f62ad3f, v60
	v_add_f32_e32 v40, v40, v0
	v_fmamk_f32 v68, v58, 0xbf788fa5, v79
	v_add_f32_e32 v41, v41, v1
	v_fma_f32 v75, 0xbf788fa5, v59, -v83
	v_mul_f32_e32 v78, 0x3f6f5d39, v47
	v_mul_f32_e32 v84, 0x3f6f5d39, v89
	v_add_f32_e32 v38, v44, v38
	v_add_f32_e32 v40, v68, v40
	v_add_f32_e32 v41, v75, v41
	v_fmamk_f32 v44, v63, 0xbeb58ec6, v78
	v_fma_f32 v76, 0xbeb58ec6, v65, -v84
	v_mul_f32_e32 v75, 0x3eedf032, v115
	v_mul_f32_e32 v90, 0x3eedf032, v116
	;; [unrolled: 1-line block ×3, first 2 shown]
	v_add_f32_e32 v40, v44, v40
	v_add_f32_e32 v41, v76, v41
	v_fmamk_f32 v44, v69, 0x3f62ad3f, v75
	v_mul_f32_e32 v76, 0xbf52af12, v121
	v_fma_f32 v81, 0x3f62ad3f, v70, -v90
	v_mul_f32_e32 v88, 0xbf52af12, v122
	v_fma_f32 v91, 0x3f62ad3f, v74, -v68
	v_add_f32_e32 v40, v44, v40
	v_fmamk_f32 v44, v72, 0x3f116cb1, v76
	v_add_f32_e32 v41, v81, v41
	v_fma_f32 v81, 0x3f116cb1, v71, -v88
	v_mul_f32_e32 v93, 0xbf6f5d39, v42
	v_mul_f32_e32 v100, 0xbf6f5d39, v43
	v_add_f32_e32 v39, v91, v39
	v_add_f32_e32 v40, v44, v40
	;; [unrolled: 1-line block ×3, first 2 shown]
	v_mul_f32_e32 v81, 0xbf29c268, v128
	v_fmamk_f32 v44, v56, 0xbeb58ec6, v93
	v_mul_f32_e32 v96, 0x3f29c268, v46
	v_fma_f32 v91, 0xbeb58ec6, v57, -v100
	v_mul_f32_e32 v101, 0x3f29c268, v45
	v_fmamk_f32 v94, v73, 0xbf3f9e67, v81
	v_add_f32_e32 v44, v44, v0
	v_fmamk_f32 v95, v58, 0xbf3f9e67, v96
	v_add_f32_e32 v91, v91, v1
	v_fma_f32 v97, 0xbf3f9e67, v59, -v101
	v_mul_f32_e32 v92, 0x3eedf032, v47
	v_mul_f32_e32 v102, 0x3eedf032, v89
	v_add_f32_e32 v40, v94, v40
	v_add_f32_e32 v44, v95, v44
	;; [unrolled: 1-line block ×3, first 2 shown]
	v_fmamk_f32 v98, v63, 0x3f62ad3f, v92
	v_fma_f32 v99, 0x3f62ad3f, v65, -v102
	v_mul_f32_e32 v94, 0xbf7e222b, v115
	v_mul_f32_e32 v97, 0xbf7e222b, v116
	;; [unrolled: 1-line block ×3, first 2 shown]
	v_add_f32_e32 v44, v98, v44
	v_add_f32_e32 v99, v99, v95
	v_fmamk_f32 v103, v69, 0x3df6dbef, v94
	v_fma_f32 v104, 0x3df6dbef, v70, -v97
	v_mul_f32_e32 v95, 0x3e750f2a, v121
	v_mul_f32_e32 v98, 0x3e750f2a, v122
	v_fma_f32 v105, 0xbf3f9e67, v74, -v91
	v_add_f32_e32 v44, v103, v44
	v_add_f32_e32 v99, v104, v99
	v_fmamk_f32 v103, v72, 0xbf788fa5, v95
	v_fma_f32 v106, 0xbf788fa5, v71, -v98
	v_mul_f32_e32 v104, 0xbf29c268, v42
	v_mul_f32_e32 v112, 0xbf29c268, v43
	v_add_f32_e32 v41, v105, v41
	v_add_f32_e32 v44, v103, v44
	;; [unrolled: 1-line block ×3, first 2 shown]
	v_fmamk_f32 v103, v56, 0xbf3f9e67, v104
	v_mul_f32_e32 v105, 0x3f7e222b, v46
	v_fma_f32 v106, 0xbf3f9e67, v57, -v112
	v_mul_f32_e32 v113, 0x3f7e222b, v45
	v_mul_f32_e32 v99, 0x3f52af12, v128
	v_add_f32_e32 v103, v103, v0
	v_fmamk_f32 v107, v58, 0x3df6dbef, v105
	v_add_f32_e32 v108, v106, v1
	v_fma_f32 v109, 0x3df6dbef, v59, -v113
	v_mul_f32_e32 v106, 0xbf52af12, v47
	v_mul_f32_e32 v114, 0xbf52af12, v89
	v_fmamk_f32 v110, v73, 0x3f116cb1, v99
	v_add_f32_e32 v103, v107, v103
	v_add_f32_e32 v108, v109, v108
	v_fmamk_f32 v109, v63, 0x3f116cb1, v106
	v_fma_f32 v117, 0x3f116cb1, v65, -v114
	v_mul_f32_e32 v107, 0x3e750f2a, v115
	v_mul_f32_e32 v111, 0x3e750f2a, v116
	v_add_f32_e32 v44, v110, v44
	v_add_f32_e32 v109, v109, v103
	;; [unrolled: 1-line block ×3, first 2 shown]
	v_fmamk_f32 v118, v69, 0xbf788fa5, v107
	v_mul_f32_e32 v108, 0x3eedf032, v121
	v_fma_f32 v119, 0xbf788fa5, v70, -v111
	v_mul_f32_e32 v110, 0x3eedf032, v122
	v_mul_f32_e32 v123, 0xbe750f2a, v43
	v_add_f32_e32 v109, v118, v109
	v_fmamk_f32 v118, v72, 0x3f62ad3f, v108
	v_add_f32_e32 v119, v119, v117
	v_fma_f32 v120, 0x3f62ad3f, v71, -v110
	v_mul_f32_e32 v117, 0xbe750f2a, v42
	v_mul_f32_e32 v124, 0x3eedf032, v45
	v_add_f32_e32 v131, v118, v109
	v_mul_f32_e32 v125, 0xbf29c268, v89
	v_add_f32_e32 v43, v120, v119
	v_fmamk_f32 v118, v56, 0xbf788fa5, v117
	v_mul_f32_e32 v119, 0x3eedf032, v46
	v_fma_f32 v46, 0xbf788fa5, v57, -v123
	v_mul_f32_e32 v120, 0xbf29c268, v47
	v_fma_f32 v47, 0x3f62ad3f, v59, -v124
	v_add_f32_e32 v45, v118, v0
	v_fmamk_f32 v118, v58, 0x3f62ad3f, v119
	v_add_f32_e32 v46, v46, v1
	v_fmamk_f32 v89, v63, 0xbf3f9e67, v120
	v_mul_f32_e32 v127, 0x3f52af12, v116
	v_mul_f32_e32 v121, 0xbf6f5d39, v121
	v_add_f32_e32 v45, v118, v45
	v_mul_f32_e32 v118, 0x3f52af12, v115
	v_add_f32_e32 v46, v47, v46
	v_fma_f32 v47, 0xbf3f9e67, v65, -v125
	v_mul_f32_e32 v126, 0xbf6f5d39, v122
	v_add_f32_e32 v45, v89, v45
	v_fmamk_f32 v89, v69, 0x3f116cb1, v118
	s_clause 0x1
	s_load_dwordx2 s[6:7], s[4:5], 0x20
	s_load_dwordx2 s[2:3], s[4:5], 0x8
	v_add_f32_e32 v46, v47, v46
	v_fma_f32 v47, 0x3f116cb1, v70, -v127
	v_mul_f32_e32 v103, 0x3f52af12, v129
	v_mul_f32_e32 v109, 0xbf6f5d39, v128
	;; [unrolled: 1-line block ×3, first 2 shown]
	v_add_f32_e32 v45, v89, v45
	v_add_f32_e32 v46, v47, v46
	v_fmamk_f32 v47, v72, 0xbeb58ec6, v121
	v_fma_f32 v89, 0xbeb58ec6, v71, -v126
	v_mul_f32_e32 v116, 0x3f7e222b, v128
	v_mul_f32_e32 v122, 0x3f7e222b, v129
	v_fma_f32 v42, 0x3f116cb1, v74, -v103
	v_fmamk_f32 v132, v73, 0xbeb58ec6, v109
	v_fma_f32 v128, 0xbeb58ec6, v74, -v115
	v_add_f32_e32 v129, v47, v45
	v_add_f32_e32 v89, v89, v46
	v_fmamk_f32 v133, v73, 0x3df6dbef, v116
	v_fma_f32 v134, 0x3df6dbef, v74, -v122
	v_add_f32_e32 v45, v42, v130
	v_add_f32_e32 v46, v132, v131
	;; [unrolled: 1-line block ×5, first 2 shown]
	v_mul_lo_u16 v89, v85, 13
	s_waitcnt lgkmcnt(0)
	s_barrier
	buffer_gl0_inv
	s_and_saveexec_b32 s0, vcc_lo
	s_cbranch_execz .LBB0_7
; %bb.6:
	v_mul_f32_e32 v131, 0xbf788fa5, v57
	v_mul_f32_e32 v128, 0x3f62ad3f, v56
	;; [unrolled: 1-line block ×5, first 2 shown]
	v_add_f32_e32 v123, v123, v131
	v_mul_f32_e32 v131, 0x3f62ad3f, v59
	v_mul_f32_e32 v137, 0xbf3f9e67, v56
	;; [unrolled: 1-line block ×4, first 2 shown]
	v_add_f32_e32 v123, v123, v1
	v_add_f32_e32 v124, v124, v131
	v_mul_f32_e32 v131, 0xbf3f9e67, v65
	v_sub_f32_e32 v56, v56, v117
	v_mul_f32_e32 v117, 0xbeb58ec6, v71
	v_mul_f32_e32 v132, 0x3f116cb1, v57
	v_add_f32_e32 v123, v124, v123
	v_add_f32_e32 v124, v125, v131
	v_mul_f32_e32 v125, 0x3f116cb1, v70
	v_add_f32_e32 v56, v56, v0
	v_add_f32_e32 v117, v126, v117
	;; [unrolled: 3-line block ×3, first 2 shown]
	v_mul_f32_e32 v127, 0x3f62ad3f, v58
	v_mul_f32_e32 v136, 0xbeb58ec6, v57
	;; [unrolled: 1-line block ×4, first 2 shown]
	v_add_f32_e32 v123, v124, v123
	v_sub_f32_e32 v119, v127, v119
	v_mul_f32_e32 v127, 0xbf3f9e67, v63
	v_mul_f32_e32 v140, 0xbeb58ec6, v59
	;; [unrolled: 1-line block ×3, first 2 shown]
	v_add_f32_e32 v117, v117, v123
	v_add_f32_e32 v56, v119, v56
	v_sub_f32_e32 v119, v127, v120
	v_mul_f32_e32 v123, 0x3f116cb1, v69
	v_mul_f32_e32 v126, 0xbf3f9e67, v59
	;; [unrolled: 1-line block ×3, first 2 shown]
	v_add_f32_e32 v57, v112, v57
	v_add_f32_e32 v56, v119, v56
	v_sub_f32_e32 v118, v123, v118
	v_mul_f32_e32 v123, 0xbeb58ec6, v72
	v_mul_f32_e32 v138, 0x3f116cb1, v58
	;; [unrolled: 1-line block ×6, first 2 shown]
	v_add_f32_e32 v59, v113, v59
	v_add_f32_e32 v57, v57, v1
	;; [unrolled: 1-line block ×3, first 2 shown]
	v_mul_f32_e32 v118, 0x3f116cb1, v65
	v_sub_f32_e32 v121, v123, v121
	v_sub_f32_e32 v104, v137, v104
	v_add_f32_e32 v57, v59, v57
	v_sub_f32_e32 v58, v58, v105
	v_add_f32_e32 v114, v114, v118
	v_add_f32_e32 v121, v121, v56
	v_mul_f32_e32 v56, 0xbf788fa5, v70
	v_add_f32_e32 v104, v104, v0
	v_mul_f32_e32 v120, 0x3df6dbef, v63
	v_mul_f32_e32 v119, 0xbf788fa5, v63
	;; [unrolled: 1-line block ×6, first 2 shown]
	v_add_f32_e32 v57, v114, v57
	v_mul_f32_e32 v137, 0x3df6dbef, v73
	v_add_f32_e32 v56, v111, v56
	v_add_f32_e32 v58, v58, v104
	v_mul_f32_e32 v104, 0x3f62ad3f, v71
	v_add_f32_e32 v59, v122, v59
	v_mul_f32_e32 v122, 0xbeb58ec6, v69
	v_mul_f32_e32 v111, 0xbf3f9e67, v69
	v_sub_f32_e32 v116, v137, v116
	v_mul_f32_e32 v137, 0x3f62ad3f, v69
	v_add_f32_e32 v56, v56, v57
	v_sub_f32_e32 v63, v63, v106
	v_mul_f32_e32 v106, 0x3df6dbef, v69
	v_mul_f32_e32 v69, 0xbf788fa5, v69
	v_add_f32_e32 v104, v110, v104
	v_add_f32_e32 v100, v100, v136
	;; [unrolled: 1-line block ×4, first 2 shown]
	v_sub_f32_e32 v69, v69, v107
	v_add_f32_e32 v104, v104, v56
	v_mul_f32_e32 v56, 0x3f62ad3f, v72
	v_add_f32_e32 v2, v2, v0
	v_mul_f32_e32 v63, 0xbeb58ec6, v74
	;; [unrolled: 2-line block ×3, first 2 shown]
	v_sub_f32_e32 v56, v56, v108
	v_mul_f32_e32 v112, 0xbf788fa5, v65
	v_mul_f32_e32 v123, 0xbeb58ec6, v65
	v_mul_f32_e32 v65, 0x3f62ad3f, v65
	v_add_f32_e32 v101, v101, v126
	v_add_f32_e32 v100, v100, v1
	;; [unrolled: 1-line block ×3, first 2 shown]
	v_sub_f32_e32 v58, v135, v93
	v_add_f32_e32 v3, v21, v3
	v_add_f32_e32 v20, v20, v2
	;; [unrolled: 1-line block ×3, first 2 shown]
	v_mul_f32_e32 v114, 0xbeb58ec6, v70
	v_mul_f32_e32 v105, 0xbf3f9e67, v70
	;; [unrolled: 1-line block ×4, first 2 shown]
	v_add_f32_e32 v100, v101, v100
	v_add_f32_e32 v65, v102, v65
	v_sub_f32_e32 v96, v124, v96
	v_add_f32_e32 v56, v59, v117
	v_add_f32_e32 v59, v58, v0
	;; [unrolled: 1-line block ×6, first 2 shown]
	v_mul_f32_e32 v107, 0xbf3f9e67, v71
	v_mul_f32_e32 v69, 0x3df6dbef, v71
	;; [unrolled: 1-line block ×4, first 2 shown]
	v_add_f32_e32 v65, v65, v100
	v_add_f32_e32 v70, v97, v70
	;; [unrolled: 1-line block ×3, first 2 shown]
	v_sub_f32_e32 v82, v118, v92
	v_add_f32_e32 v3, v17, v3
	v_add_f32_e32 v16, v16, v20
	v_mul_f32_e32 v126, 0xbeb58ec6, v73
	v_add_f32_e32 v63, v63, v1
	v_add_f32_e32 v83, v83, v125
	v_mul_f32_e32 v110, 0xbf3f9e67, v72
	v_mul_f32_e32 v115, 0x3df6dbef, v72
	;; [unrolled: 1-line block ×4, first 2 shown]
	v_add_f32_e32 v65, v70, v65
	v_add_f32_e32 v70, v98, v71
	v_add_f32_e32 v59, v82, v59
	v_sub_f32_e32 v71, v106, v94
	v_add_f32_e32 v3, v19, v3
	v_add_f32_e32 v16, v18, v16
	v_sub_f32_e32 v109, v126, v109
	v_mul_f32_e32 v126, 0xbf788fa5, v74
	v_mul_f32_e32 v102, 0x3f62ad3f, v74
	;; [unrolled: 1-line block ×4, first 2 shown]
	v_add_f32_e32 v63, v83, v63
	v_add_f32_e32 v82, v84, v123
	;; [unrolled: 1-line block ×3, first 2 shown]
	v_sub_f32_e32 v71, v72, v95
	v_sub_f32_e32 v77, v133, v77
	v_add_f32_e32 v37, v37, v132
	v_sub_f32_e32 v34, v130, v34
	v_add_f32_e32 v22, v30, v129
	;; [unrolled: 2-line block ×3, first 2 shown]
	v_add_f32_e32 v12, v12, v16
	v_add_f32_e32 v65, v70, v65
	;; [unrolled: 1-line block ×12, first 2 shown]
	v_sub_f32_e32 v17, v138, v29
	v_add_f32_e32 v3, v15, v3
	v_add_f32_e32 v12, v14, v12
	;; [unrolled: 1-line block ×5, first 2 shown]
	v_sub_f32_e32 v72, v141, v79
	v_add_f32_e32 v51, v51, v140
	v_sub_f32_e32 v48, v131, v48
	v_add_f32_e32 v1, v20, v1
	v_add_f32_e32 v13, v33, v127
	;; [unrolled: 1-line block ×3, first 2 shown]
	v_sub_f32_e32 v16, v120, v32
	v_add_f32_e32 v3, v9, v3
	v_add_f32_e32 v8, v8, v12
	;; [unrolled: 1-line block ×5, first 2 shown]
	v_sub_f32_e32 v72, v113, v78
	v_add_f32_e32 v37, v51, v37
	v_add_f32_e32 v51, v64, v112
	v_add_f32_e32 v34, v48, v34
	v_sub_f32_e32 v48, v119, v61
	v_add_f32_e32 v1, v13, v1
	v_add_f32_e32 v13, v36, v114
	v_add_f32_e32 v0, v16, v0
	;; [unrolled: 4-line block ×3, first 2 shown]
	v_add_f32_e32 v70, v72, v71
	v_sub_f32_e32 v71, v137, v75
	v_add_f32_e32 v37, v51, v37
	v_add_f32_e32 v51, v66, v105
	;; [unrolled: 1-line block ×3, first 2 shown]
	v_sub_f32_e32 v48, v111, v62
	v_mul_f32_e32 v143, 0xbf788fa5, v73
	v_add_f32_e32 v1, v13, v1
	v_add_f32_e32 v12, v50, v107
	;; [unrolled: 1-line block ×3, first 2 shown]
	v_sub_f32_e32 v9, v110, v49
	v_add_f32_e32 v3, v5, v3
	v_add_f32_e32 v4, v4, v8
	v_mul_f32_e32 v101, 0x3f62ad3f, v73
	v_mul_f32_e32 v93, 0xbf3f9e67, v73
	v_add_f32_e32 v64, v71, v70
	v_sub_f32_e32 v70, v108, v76
	v_add_f32_e32 v37, v51, v37
	v_add_f32_e32 v51, v67, v69
	;; [unrolled: 1-line block ×3, first 2 shown]
	v_sub_f32_e32 v21, v115, v55
	v_mul_f32_e32 v73, 0x3f116cb1, v73
	v_add_f32_e32 v1, v12, v1
	v_add_f32_e32 v5, v54, v126
	;; [unrolled: 1-line block ×3, first 2 shown]
	v_sub_f32_e32 v8, v143, v53
	v_add_f32_e32 v7, v7, v3
	v_add_f32_e32 v9, v6, v4
	v_and_b32_e32 v10, 0xffff, v89
	v_add_f32_e32 v61, v70, v64
	v_sub_f32_e32 v64, v93, v81
	v_add_f32_e32 v37, v51, v37
	v_add_f32_e32 v51, v68, v102
	;; [unrolled: 1-line block ×3, first 2 shown]
	v_sub_f32_e32 v23, v101, v60
	v_sub_f32_e32 v73, v73, v99
	v_add_f32_e32 v4, v5, v1
	v_add_f32_e32 v3, v8, v0
	;; [unrolled: 1-line block ×4, first 2 shown]
	v_add_lshl_u32 v0, v52, v10, 3
	v_add_f32_e32 v64, v64, v61
	v_add_f32_e32 v2, v51, v37
	v_add_f32_e32 v1, v23, v21
	v_add_f32_e32 v57, v109, v142
	v_add_f32_e32 v62, v73, v59
	v_add_f32_e32 v55, v116, v121
	ds_write2_b64 v0, v[5:6], v[3:4] offset1:1
	ds_write2_b64 v0, v[1:2], v[64:65] offset0:2 offset1:3
	ds_write2_b64 v0, v[62:63], v[57:58] offset0:4 offset1:5
	;; [unrolled: 1-line block ×5, first 2 shown]
	ds_write_b64 v0, v[24:25] offset:96
.LBB0_7:
	s_or_b32 exec_lo, exec_lo, s0
	v_add_lshl_u32 v88, v52, v85, 3
	s_waitcnt lgkmcnt(0)
	s_barrier
	buffer_gl0_inv
	v_cmp_gt_u16_e64 s0, 52, v85
	v_add_nc_u32_e32 v0, 0x800, v88
	v_add_nc_u32_e32 v1, 0x1000, v88
                                        ; implicit-def: $vgpr50
	ds_read2_b64 v[26:29], v88 offset1:143
	ds_read2_b64 v[34:37], v0 offset0:30 offset1:173
	ds_read2_b64 v[30:33], v1 offset0:60 offset1:203
	ds_read_b64 v[48:49], v88 offset:6864
	s_and_saveexec_b32 s1, s0
	s_cbranch_execz .LBB0_9
; %bb.8:
	v_add_nc_u32_e32 v4, 0xa00, v88
	v_add_nc_u32_e32 v8, 0x1400, v88
	ds_read2_b64 v[0:3], v88 offset0:91 offset1:234
	ds_read2_b64 v[4:7], v4 offset0:57 offset1:200
	ds_read2_b64 v[22:25], v8 offset0:23 offset1:166
	ds_read_b64 v[50:51], v88 offset:7592
	s_waitcnt lgkmcnt(3)
	v_mov_b32_e32 v46, v2
	v_mov_b32_e32 v47, v3
	v_mov_b32_e32 v42, v0
	s_waitcnt lgkmcnt(2)
	v_mov_b32_e32 v40, v6
	v_mov_b32_e32 v41, v7
	s_waitcnt lgkmcnt(1)
	v_mov_b32_e32 v38, v22
	v_mov_b32_e32 v39, v23
	;; [unrolled: 1-line block ×5, first 2 shown]
.LBB0_9:
	s_or_b32 exec_lo, exec_lo, s1
	v_and_b32_e32 v0, 0xff, v85
	v_add_nc_u16 v2, v85, 0x5b
	v_mov_b32_e32 v1, 6
	v_mov_b32_e32 v53, 0x5b
	v_mul_lo_u16 v0, 0x4f, v0
	v_lshrrev_b16 v54, 10, v0
	v_mul_lo_u16 v0, v54, 13
	v_mul_u32_u24_sdwa v54, v54, v53 dst_sel:DWORD dst_unused:UNUSED_PAD src0_sel:WORD_0 src1_sel:DWORD
	v_sub_nc_u16 v55, v85, v0
	v_and_b32_e32 v0, 0xff, v2
	v_mul_u32_u24_sdwa v3, v55, v1 dst_sel:DWORD dst_unused:UNUSED_PAD src0_sel:BYTE_0 src1_sel:DWORD
	v_mul_lo_u16 v0, 0x4f, v0
	v_add_nc_u32_sdwa v54, v54, v55 dst_sel:DWORD dst_unused:UNUSED_PAD src0_sel:DWORD src1_sel:BYTE_0
	v_lshlrev_b32_e32 v3, 3, v3
	v_lshrrev_b16 v91, 10, v0
	v_add_lshl_u32 v93, v52, v54, 3
	s_clause 0x1
	global_load_dwordx4 v[20:23], v3, s[2:3]
	global_load_dwordx4 v[16:19], v3, s[2:3] offset:16
	v_mul_lo_u16 v0, v91, 13
	global_load_dwordx4 v[12:15], v3, s[2:3] offset:32
	v_sub_nc_u16 v92, v2, v0
	v_mul_u32_u24_sdwa v0, v92, v1 dst_sel:DWORD dst_unused:UNUSED_PAD src0_sel:BYTE_0 src1_sel:DWORD
	v_lshlrev_b32_e32 v8, 3, v0
	s_clause 0x2
	global_load_dwordx4 v[4:7], v8, s[2:3]
	global_load_dwordx4 v[0:3], v8, s[2:3] offset:16
	global_load_dwordx4 v[8:11], v8, s[2:3] offset:32
	s_load_dwordx4 s[4:7], s[6:7], 0x0
	s_waitcnt vmcnt(0) lgkmcnt(0)
	s_barrier
	buffer_gl0_inv
	v_mul_f32_e32 v54, v29, v21
	v_mul_f32_e32 v55, v28, v21
	;; [unrolled: 1-line block ×12, first 2 shown]
	v_fma_f32 v28, v28, v20, -v54
	v_fmac_f32_e32 v55, v29, v20
	v_fma_f32 v29, v34, v22, -v56
	v_fmac_f32_e32 v57, v35, v22
	;; [unrolled: 2-line block ×6, first 2 shown]
	v_mul_f32_e32 v33, v47, v5
	v_mul_f32_e32 v35, v46, v5
	;; [unrolled: 1-line block ×12, first 2 shown]
	v_fma_f32 v33, v46, v4, -v33
	v_fmac_f32_e32 v35, v47, v4
	v_fma_f32 v36, v44, v6, -v36
	v_fmac_f32_e32 v37, v45, v6
	v_fmac_f32_e32 v49, v41, v0
	;; [unrolled: 1-line block ×3, first 2 shown]
	v_fma_f32 v24, v24, v8, -v58
	v_fmac_f32_e32 v60, v25, v8
	v_fma_f32 v25, v50, v10, -v62
	v_fmac_f32_e32 v64, v51, v10
	v_add_f32_e32 v39, v28, v32
	v_add_f32_e32 v41, v55, v65
	;; [unrolled: 1-line block ×4, first 2 shown]
	v_sub_f32_e32 v29, v29, v31
	v_sub_f32_e32 v31, v57, v63
	v_add_f32_e32 v46, v34, v30
	v_add_f32_e32 v47, v59, v61
	v_sub_f32_e32 v30, v30, v34
	v_sub_f32_e32 v34, v61, v59
	v_fma_f32 v40, v40, v0, -v48
	v_fma_f32 v38, v38, v2, -v54
	v_sub_f32_e32 v28, v28, v32
	v_sub_f32_e32 v32, v55, v65
	v_add_f32_e32 v48, v44, v39
	v_add_f32_e32 v50, v45, v41
	v_sub_f32_e32 v54, v45, v41
	v_sub_f32_e32 v41, v41, v47
	;; [unrolled: 1-line block ×4, first 2 shown]
	v_add_f32_e32 v61, v33, v25
	v_add_f32_e32 v62, v35, v64
	v_sub_f32_e32 v25, v33, v25
	v_sub_f32_e32 v33, v35, v64
	v_add_f32_e32 v35, v36, v24
	v_add_f32_e32 v63, v37, v60
	v_sub_f32_e32 v51, v44, v39
	v_sub_f32_e32 v39, v39, v46
	;; [unrolled: 1-line block ×3, first 2 shown]
	v_add_f32_e32 v55, v30, v29
	v_add_f32_e32 v57, v34, v31
	v_sub_f32_e32 v58, v30, v29
	v_sub_f32_e32 v34, v32, v34
	;; [unrolled: 1-line block ×6, first 2 shown]
	v_add_f32_e32 v37, v40, v38
	v_add_f32_e32 v60, v49, v56
	v_sub_f32_e32 v38, v38, v40
	v_sub_f32_e32 v40, v56, v49
	v_add_f32_e32 v46, v46, v48
	v_add_f32_e32 v47, v47, v50
	v_mul_f32_e32 v41, 0x3f4a47b2, v41
	v_mul_f32_e32 v50, 0x3d64c772, v45
	v_mul_f32_e32 v56, 0xbf08b237, v59
	v_add_f32_e32 v59, v35, v61
	v_add_f32_e32 v64, v63, v62
	v_sub_f32_e32 v30, v28, v30
	v_add_f32_e32 v28, v55, v28
	v_add_f32_e32 v32, v57, v32
	v_mul_f32_e32 v48, 0x3f4a47b2, v39
	v_mul_f32_e32 v49, 0x3d64c772, v44
	;; [unrolled: 1-line block ×5, first 2 shown]
	v_sub_f32_e32 v65, v35, v61
	v_sub_f32_e32 v66, v63, v62
	;; [unrolled: 1-line block ×6, first 2 shown]
	v_add_f32_e32 v67, v38, v24
	v_add_f32_e32 v68, v40, v36
	v_sub_f32_e32 v69, v38, v24
	v_sub_f32_e32 v70, v40, v36
	v_sub_f32_e32 v71, v25, v38
	v_sub_f32_e32 v72, v24, v25
	v_sub_f32_e32 v36, v36, v33
	v_add_f32_e32 v38, v26, v46
	v_fmamk_f32 v45, v45, 0x3d64c772, v41
	v_fma_f32 v50, 0x3f3bfb3b, v54, -v50
	v_fma_f32 v41, 0xbf3bfb3b, v54, -v41
	v_fmamk_f32 v73, v34, 0x3eae86e6, v56
	v_fma_f32 v54, 0x3f5ff5aa, v31, -v56
	v_add_f32_e32 v37, v37, v59
	v_add_f32_e32 v56, v60, v64
	v_sub_f32_e32 v40, v33, v40
	v_add_f32_e32 v39, v27, v47
	v_fmamk_f32 v44, v44, 0x3d64c772, v48
	v_fma_f32 v49, 0x3f3bfb3b, v51, -v49
	v_fma_f32 v48, 0xbf3bfb3b, v51, -v48
	v_fmamk_f32 v51, v30, 0x3eae86e6, v55
	v_fma_f32 v55, 0x3f5ff5aa, v29, -v55
	v_fma_f32 v57, 0xbeae86e6, v30, -v57
	v_fma_f32 v34, 0xbeae86e6, v34, -v58
	v_add_f32_e32 v58, v67, v25
	v_mul_f32_e32 v26, 0x3f4a47b2, v61
	v_mul_f32_e32 v27, 0x3f4a47b2, v62
	;; [unrolled: 1-line block ×8, first 2 shown]
	v_fmamk_f32 v46, v46, 0xbf955555, v38
	v_add_f32_e32 v24, v42, v37
	v_add_f32_e32 v25, v43, v56
	;; [unrolled: 1-line block ×3, first 2 shown]
	v_fmamk_f32 v47, v47, 0xbf955555, v39
	v_fmac_f32_e32 v51, 0x3ee1c552, v28
	v_fmac_f32_e32 v73, 0x3ee1c552, v32
	;; [unrolled: 1-line block ×6, first 2 shown]
	v_fmamk_f32 v32, v35, 0x3d64c772, v26
	v_fmamk_f32 v35, v63, 0x3d64c772, v27
	v_fma_f32 v62, 0x3f3bfb3b, v65, -v29
	v_fma_f32 v63, 0x3f3bfb3b, v66, -v30
	v_fma_f32 v64, 0xbf3bfb3b, v65, -v26
	v_fma_f32 v65, 0xbf3bfb3b, v66, -v27
	v_fmamk_f32 v26, v71, 0x3eae86e6, v31
	v_fmamk_f32 v27, v40, 0x3eae86e6, v59
	v_fma_f32 v31, 0x3f5ff5aa, v72, -v31
	v_fma_f32 v29, 0x3f5ff5aa, v36, -v59
	;; [unrolled: 1-line block ×4, first 2 shown]
	v_add_f32_e32 v36, v44, v46
	v_add_f32_e32 v49, v49, v46
	;; [unrolled: 1-line block ×3, first 2 shown]
	v_fmamk_f32 v48, v37, 0xbf955555, v24
	v_fmamk_f32 v60, v56, 0xbf955555, v25
	v_add_f32_e32 v59, v45, v47
	v_add_f32_e32 v50, v50, v47
	;; [unrolled: 1-line block ×3, first 2 shown]
	v_fmac_f32_e32 v26, 0x3ee1c552, v58
	v_fmac_f32_e32 v27, 0x3ee1c552, v33
	;; [unrolled: 1-line block ×6, first 2 shown]
	v_add_f32_e32 v40, v73, v36
	v_add_f32_e32 v42, v34, v46
	v_sub_f32_e32 v56, v46, v34
	v_sub_f32_e32 v58, v36, v73
	v_add_f32_e32 v32, v32, v48
	v_add_f32_e32 v34, v62, v48
	;; [unrolled: 1-line block ×6, first 2 shown]
	v_sub_f32_e32 v41, v59, v51
	v_sub_f32_e32 v43, v47, v57
	;; [unrolled: 1-line block ×3, first 2 shown]
	v_add_f32_e32 v45, v55, v50
	v_add_f32_e32 v54, v54, v49
	v_sub_f32_e32 v55, v50, v55
	v_add_f32_e32 v57, v57, v47
	v_add_f32_e32 v59, v51, v59
	;; [unrolled: 1-line block ×3, first 2 shown]
	v_sub_f32_e32 v49, v37, v31
	v_sub_f32_e32 v50, v33, v28
	v_add_f32_e32 v51, v30, v36
	v_sub_f32_e32 v46, v32, v27
	v_add_f32_e32 v47, v26, v35
	ds_write2_b64 v93, v[38:39], v[40:41] offset1:13
	ds_write2_b64 v93, v[42:43], v[44:45] offset0:26 offset1:39
	ds_write2_b64 v93, v[54:55], v[56:57] offset0:52 offset1:65
	ds_write_b64 v93, v[58:59] offset:624
	s_and_saveexec_b32 s1, s0
	s_cbranch_execz .LBB0_11
; %bb.10:
	v_mul_u32_u24_sdwa v39, v91, v53 dst_sel:DWORD dst_unused:UNUSED_PAD src0_sel:WORD_0 src1_sel:DWORD
	v_add_f32_e32 v38, v31, v37
	v_sub_f32_e32 v37, v34, v29
	v_sub_f32_e32 v29, v36, v30
	;; [unrolled: 1-line block ×3, first 2 shown]
	v_add_nc_u32_sdwa v39, v39, v92 dst_sel:DWORD dst_unused:UNUSED_PAD src0_sel:DWORD src1_sel:BYTE_0
	v_add_f32_e32 v30, v27, v32
	v_add_f32_e32 v28, v28, v33
	v_add_lshl_u32 v26, v52, v39, 3
	ds_write2_b64 v26, v[24:25], v[30:31] offset1:13
	ds_write2_b64 v26, v[28:29], v[37:38] offset0:26 offset1:39
	ds_write2_b64 v26, v[48:49], v[50:51] offset0:52 offset1:65
	ds_write_b64 v26, v[46:47] offset:624
.LBB0_11:
	s_or_b32 exec_lo, exec_lo, s1
	v_mad_u64_u32 v[32:33], null, 0x50, v85, s[2:3]
	s_waitcnt lgkmcnt(0)
	s_barrier
	buffer_gl0_inv
	v_add_nc_u32_e32 v44, 0x800, v88
	v_add_nc_u32_e32 v45, 0xc00, v88
	v_lshl_add_u32 v90, v85, 3, v87
	s_clause 0x4
	global_load_dwordx4 v[40:43], v[32:33], off offset:624
	global_load_dwordx4 v[36:39], v[32:33], off offset:640
	;; [unrolled: 1-line block ×5, first 2 shown]
	ds_read2_b64 v[60:63], v88 offset0:91 offset1:182
	ds_read2_b64 v[56:59], v44 offset0:17 offset1:108
	v_add_nc_u32_e32 v44, 0x1000, v88
	ds_read2_b64 v[52:55], v45 offset0:71 offset1:162
	v_add_nc_u32_e32 v45, 0x1800, v88
	ds_read2_b64 v[64:67], v44 offset0:125 offset1:216
	ds_read_b64 v[73:74], v88
	ds_read2_b64 v[68:71], v45 offset0:51 offset1:142
	v_add_nc_u32_e32 v44, 0x800, v90
	v_add_nc_u32_e32 v45, 0x1000, v90
	;; [unrolled: 1-line block ×4, first 2 shown]
	s_waitcnt vmcnt(4) lgkmcnt(5)
	v_mul_f32_e32 v76, v61, v41
	v_mul_f32_e32 v77, v60, v41
	;; [unrolled: 1-line block ×4, first 2 shown]
	s_waitcnt vmcnt(3) lgkmcnt(4)
	v_mul_f32_e32 v82, v56, v37
	v_mul_f32_e32 v83, v59, v39
	;; [unrolled: 1-line block ×3, first 2 shown]
	s_waitcnt vmcnt(0) lgkmcnt(0)
	v_mul_f32_e32 v104, v71, v35
	v_mul_f32_e32 v105, v70, v35
	v_fma_f32 v60, v60, v40, -v76
	v_fmac_f32_e32 v77, v61, v40
	v_mul_f32_e32 v81, v57, v37
	v_mul_f32_e32 v94, v53, v29
	;; [unrolled: 1-line block ×11, first 2 shown]
	v_fma_f32 v61, v62, v42, -v78
	v_fmac_f32_e32 v79, v63, v42
	v_fmac_f32_e32 v82, v57, v36
	v_fma_f32 v57, v58, v38, -v83
	v_fmac_f32_e32 v84, v59, v38
	v_fma_f32 v70, v70, v34, -v104
	v_fmac_f32_e32 v105, v71, v34
	v_add_f32_e32 v58, v73, v60
	v_add_f32_e32 v59, v74, v77
	v_fma_f32 v56, v56, v36, -v81
	v_fma_f32 v52, v52, v28, -v94
	v_fmac_f32_e32 v95, v53, v28
	v_fma_f32 v53, v54, v30, -v96
	v_fmac_f32_e32 v97, v55, v30
	v_fma_f32 v54, v64, v24, -v98
	v_fmac_f32_e32 v99, v65, v24
	v_fma_f32 v55, v66, v26, -v100
	v_fmac_f32_e32 v101, v67, v26
	v_fma_f32 v67, v68, v32, -v102
	v_fmac_f32_e32 v103, v69, v32
	v_add_f32_e32 v62, v60, v70
	v_sub_f32_e32 v60, v60, v70
	v_sub_f32_e32 v64, v77, v105
	v_add_f32_e32 v58, v58, v61
	v_add_f32_e32 v59, v59, v79
	;; [unrolled: 1-line block ×5, first 2 shown]
	v_sub_f32_e32 v68, v61, v67
	v_sub_f32_e32 v69, v79, v103
	v_add_f32_e32 v71, v56, v55
	v_sub_f32_e32 v77, v56, v55
	v_sub_f32_e32 v78, v82, v101
	;; [unrolled: 1-line block ×6, first 2 shown]
	v_mul_f32_e32 v61, 0xbf0a6770, v64
	v_mul_f32_e32 v79, 0xbf0a6770, v60
	;; [unrolled: 1-line block ×8, first 2 shown]
	v_add_f32_e32 v56, v58, v56
	v_add_f32_e32 v58, v59, v82
	;; [unrolled: 1-line block ×7, first 2 shown]
	v_mul_f32_e32 v110, 0xbf4178ce, v64
	v_mul_f32_e32 v64, 0xbe903f40, v64
	;; [unrolled: 1-line block ×42, first 2 shown]
	v_fma_f32 v59, 0x3f575c64, v62, -v61
	v_fmamk_f32 v82, v63, 0x3f575c64, v79
	v_fmac_f32_e32 v61, 0x3f575c64, v62
	v_fma_f32 v79, 0x3f575c64, v63, -v79
	v_fma_f32 v144, 0x3ed4b147, v62, -v106
	v_fmamk_f32 v145, v63, 0x3ed4b147, v107
	v_fmac_f32_e32 v106, 0x3ed4b147, v62
	v_fma_f32 v107, 0x3ed4b147, v63, -v107
	;; [unrolled: 4-line block ×3, first 2 shown]
	v_fmamk_f32 v149, v63, 0xbf27a4f4, v111
	v_fma_f32 v111, 0xbf27a4f4, v63, -v111
	v_fmamk_f32 v151, v63, 0xbf75a155, v60
	v_fma_f32 v60, 0xbf75a155, v63, -v60
	v_add_f32_e32 v56, v56, v57
	v_add_f32_e32 v57, v58, v84
	v_fma_f32 v148, 0xbf27a4f4, v62, -v110
	v_fmac_f32_e32 v110, 0xbf27a4f4, v62
	v_fma_f32 v150, 0xbf75a155, v62, -v64
	v_fmac_f32_e32 v64, 0xbf75a155, v62
	v_fma_f32 v62, 0x3ed4b147, v65, -v112
	v_fmamk_f32 v63, v66, 0x3ed4b147, v113
	v_fmac_f32_e32 v112, 0x3ed4b147, v65
	v_fma_f32 v113, 0x3ed4b147, v66, -v113
	v_fma_f32 v152, 0xbf27a4f4, v65, -v114
	v_fmamk_f32 v153, v66, 0xbf27a4f4, v115
	v_fmac_f32_e32 v114, 0xbf27a4f4, v65
	v_fma_f32 v115, 0xbf27a4f4, v66, -v115
	;; [unrolled: 4-line block ×17, first 2 shown]
	v_fma_f32 v178, 0xbf27a4f4, v98, -v140
	v_fmac_f32_e32 v140, 0xbf27a4f4, v98
	v_fma_f32 v179, 0x3ed4b147, v98, -v142
	v_fmac_f32_e32 v142, 0x3ed4b147, v98
	v_fma_f32 v180, 0xbe11bafb, v98, -v104
	v_fmac_f32_e32 v104, 0xbe11bafb, v98
	v_fmamk_f32 v98, v100, 0xbf27a4f4, v141
	v_fma_f32 v141, 0xbf27a4f4, v100, -v141
	v_fmamk_f32 v181, v100, 0x3ed4b147, v143
	v_fma_f32 v143, 0x3ed4b147, v100, -v143
	;; [unrolled: 2-line block ×3, first 2 shown]
	v_add_f32_e32 v59, v73, v59
	v_add_f32_e32 v82, v74, v82
	;; [unrolled: 1-line block ×112, first 2 shown]
	ds_write_b64 v90, v[81:82]
	ds_write2_b64 v90, v[52:53], v[54:55] offset0:91 offset1:182
	ds_write2_b64 v44, v[64:65], v[66:67] offset0:17 offset1:108
	;; [unrolled: 1-line block ×5, first 2 shown]
	s_waitcnt lgkmcnt(0)
	s_barrier
	buffer_gl0_inv
	s_and_saveexec_b32 s2, vcc_lo
	s_cbranch_execz .LBB0_13
; %bb.12:
	v_add_co_u32 v79, s1, s14, v86
	v_add_co_ci_u32_e64 v95, null, s15, 0, s1
	v_add_nc_u32_e32 v135, 0x400, v90
	v_add_co_u32 v73, s1, 0x1800, v79
	v_add_co_ci_u32_e64 v74, s1, 0, v95, s1
	v_add_co_u32 v75, s1, 0x1f48, v79
	v_add_co_ci_u32_e64 v76, s1, 0, v95, s1
	global_load_dwordx2 v[73:74], v[73:74], off offset:1864
	v_add_co_u32 v77, s1, 0x2800, v79
	v_add_co_ci_u32_e64 v78, s1, 0, v95, s1
	s_clause 0x2
	global_load_dwordx2 v[83:84], v[75:76], off offset:616
	global_load_dwordx2 v[114:115], v[75:76], off offset:1232
	global_load_dwordx2 v[116:117], v[75:76], off offset:1848
	v_add_co_u32 v75, s1, 0x3000, v79
	v_add_co_ci_u32_e64 v76, s1, 0, v95, s1
	v_add_co_u32 v94, s1, 0x3800, v79
	v_add_co_ci_u32_e64 v95, s1, 0, v95, s1
	s_clause 0x8
	global_load_dwordx2 v[118:119], v[77:78], off offset:232
	global_load_dwordx2 v[120:121], v[77:78], off offset:848
	;; [unrolled: 1-line block ×9, first 2 shown]
	ds_read_b64 v[75:76], v90
	v_add_nc_u32_e32 v136, 0x1400, v90
	s_waitcnt vmcnt(12) lgkmcnt(0)
	v_mul_f32_e32 v79, v76, v74
	v_mul_f32_e32 v95, v75, v74
	v_fma_f32 v94, v75, v73, -v79
	v_fmac_f32_e32 v95, v76, v73
	ds_write_b64 v90, v[94:95]
	ds_read2_b64 v[73:76], v90 offset0:77 offset1:154
	ds_read2_b64 v[94:97], v135 offset0:103 offset1:180
	;; [unrolled: 1-line block ×6, first 2 shown]
	s_waitcnt vmcnt(11) lgkmcnt(5)
	v_mul_f32_e32 v137, v74, v84
	v_mul_f32_e32 v79, v73, v84
	s_waitcnt vmcnt(10)
	v_mul_f32_e32 v138, v76, v115
	v_mul_f32_e32 v84, v75, v115
	s_waitcnt vmcnt(9) lgkmcnt(4)
	v_mul_f32_e32 v139, v95, v117
	v_mul_f32_e32 v115, v94, v117
	s_waitcnt vmcnt(8)
	v_mul_f32_e32 v140, v97, v119
	v_mul_f32_e32 v117, v96, v119
	;; [unrolled: 6-line block ×6, first 2 shown]
	v_fma_f32 v78, v73, v83, -v137
	v_fmac_f32_e32 v79, v74, v83
	v_fma_f32 v83, v75, v114, -v138
	v_fmac_f32_e32 v84, v76, v114
	;; [unrolled: 2-line block ×12, first 2 shown]
	ds_write2_b64 v90, v[78:79], v[83:84] offset0:77 offset1:154
	ds_write2_b64 v135, v[114:115], v[116:117] offset0:103 offset1:180
	;; [unrolled: 1-line block ×6, first 2 shown]
.LBB0_13:
	s_or_b32 exec_lo, exec_lo, s2
	s_waitcnt lgkmcnt(0)
	s_barrier
	buffer_gl0_inv
	s_and_saveexec_b32 s1, vcc_lo
	s_cbranch_execz .LBB0_15
; %bb.14:
	v_add_nc_u32_e32 v44, 0x400, v90
	v_add_nc_u32_e32 v45, 0x800, v90
	;; [unrolled: 1-line block ×5, first 2 shown]
	ds_read_b64 v[81:82], v90
	ds_read2_b64 v[52:55], v90 offset0:77 offset1:154
	ds_read2_b64 v[64:67], v44 offset0:103 offset1:180
	;; [unrolled: 1-line block ×6, first 2 shown]
.LBB0_15:
	s_or_b32 exec_lo, exec_lo, s1
	s_waitcnt lgkmcnt(0)
	v_sub_f32_e32 v44, v53, v51
	v_add_f32_e32 v45, v51, v53
	v_add_f32_e32 v134, v50, v52
	v_sub_f32_e32 v135, v52, v50
	v_add_f32_e32 v147, v48, v54
	v_mul_f32_e32 v94, 0xbeedf032, v44
	v_mul_f32_e32 v95, 0x3f62ad3f, v45
	;; [unrolled: 1-line block ×7, first 2 shown]
	v_sub_f32_e32 v45, v55, v49
	v_fma_f32 v72, 0x3f62ad3f, v134, -v94
	v_mul_f32_e32 v114, 0xbf29c268, v44
	v_add_f32_e32 v100, v49, v55
	v_fmamk_f32 v97, v135, 0xbe750f2a, v131
	v_mul_f32_e32 v96, 0xbf52af12, v45
	v_mul_f32_e32 v98, 0xbf52af12, v44
	v_fmamk_f32 v73, v135, 0xbeedf032, v95
	v_add_f32_e32 v72, v81, v72
	v_fma_f32 v83, 0xbf3f9e67, v134, -v114
	v_add_f32_e32 v106, v82, v97
	v_fma_f32 v101, 0x3f116cb1, v147, -v96
	v_sub_f32_e32 v148, v54, v48
	v_mul_f32_e32 v97, 0x3f116cb1, v100
	v_fma_f32 v74, 0x3f116cb1, v134, -v98
	v_mul_f32_e32 v102, 0xbf7e222b, v44
	v_add_f32_e32 v73, v82, v73
	v_mul_f32_e32 v107, 0xbf6f5d39, v44
	v_fmamk_f32 v77, v135, 0xbf7e222b, v104
	v_mul_f32_e32 v122, 0xbe750f2a, v44
	v_add_f32_e32 v44, v81, v83
	v_fmamk_f32 v83, v135, 0xbf29c268, v119
	v_mul_f32_e32 v103, 0xbf6f5d39, v45
	v_add_f32_e32 v72, v101, v72
	v_fmamk_f32 v101, v148, 0xbf52af12, v97
	v_mul_f32_e32 v113, 0xbf788fa5, v100
	v_mul_f32_e32 v133, 0x3df6dbef, v100
	v_fmamk_f32 v75, v135, 0xbf52af12, v99
	v_add_f32_e32 v74, v81, v74
	v_fma_f32 v78, 0xbeb58ec6, v134, -v107
	v_fmamk_f32 v79, v135, 0xbf6f5d39, v110
	v_add_f32_e32 v77, v82, v77
	v_add_f32_e32 v83, v82, v83
	v_mul_f32_e32 v105, 0xbeb58ec6, v100
	v_mul_f32_e32 v109, 0xbe750f2a, v45
	v_fma_f32 v108, 0xbeb58ec6, v147, -v103
	v_add_f32_e32 v73, v101, v73
	v_fmamk_f32 v101, v148, 0xbe750f2a, v113
	v_mul_f32_e32 v118, 0x3f29c268, v45
	v_mul_f32_e32 v120, 0xbf3f9e67, v100
	;; [unrolled: 1-line block ×4, first 2 shown]
	v_fmamk_f32 v45, v148, 0x3f7e222b, v133
	v_add_f32_e32 v75, v82, v75
	v_add_f32_e32 v78, v81, v78
	;; [unrolled: 1-line block ×3, first 2 shown]
	v_fma_f32 v84, 0xbf788fa5, v134, -v122
	v_fmamk_f32 v111, v148, 0xbf6f5d39, v105
	v_add_f32_e32 v74, v108, v74
	v_add_f32_e32 v77, v101, v77
	v_fma_f32 v101, 0xbf3f9e67, v147, -v118
	v_fmamk_f32 v108, v148, 0x3f29c268, v120
	v_add_f32_e32 v45, v45, v83
	v_sub_f32_e32 v83, v65, v59
	v_add_f32_e32 v84, v81, v84
	v_add_f32_e32 v75, v111, v75
	v_fma_f32 v111, 0x3df6dbef, v147, -v129
	v_add_f32_e32 v78, v101, v78
	v_add_f32_e32 v79, v108, v79
	v_fma_f32 v101, 0x3f62ad3f, v147, -v136
	v_mul_f32_e32 v146, 0x3f62ad3f, v100
	v_add_f32_e32 v108, v59, v65
	v_add_f32_e32 v156, v58, v64
	v_mul_f32_e32 v100, 0xbf7e222b, v83
	v_fma_f32 v76, 0x3df6dbef, v134, -v102
	v_add_f32_e32 v44, v111, v44
	v_add_f32_e32 v84, v101, v84
	v_sub_f32_e32 v157, v64, v58
	v_mul_f32_e32 v101, 0x3df6dbef, v108
	v_fmamk_f32 v115, v148, 0x3eedf032, v146
	v_mul_f32_e32 v111, 0xbe750f2a, v83
	v_fma_f32 v116, 0x3df6dbef, v156, -v100
	v_add_f32_e32 v76, v81, v76
	v_fma_f32 v112, 0xbf788fa5, v147, -v109
	v_fmamk_f32 v117, v157, 0xbf7e222b, v101
	v_add_f32_e32 v115, v115, v106
	v_fma_f32 v106, 0xbf788fa5, v156, -v111
	v_add_f32_e32 v72, v116, v72
	v_mul_f32_e32 v116, 0x3f6f5d39, v83
	v_mul_f32_e32 v124, 0xbeb58ec6, v108
	v_add_f32_e32 v76, v112, v76
	v_mul_f32_e32 v112, 0xbf788fa5, v108
	v_add_f32_e32 v73, v117, v73
	v_add_f32_e32 v74, v106, v74
	v_fma_f32 v106, 0xbeb58ec6, v156, -v116
	v_mul_f32_e32 v132, 0x3f62ad3f, v108
	v_fmamk_f32 v117, v157, 0x3f6f5d39, v124
	v_mul_f32_e32 v145, 0x3f116cb1, v108
	v_fmamk_f32 v121, v157, 0xbe750f2a, v112
	v_mul_f32_e32 v127, 0x3eedf032, v83
	v_mul_f32_e32 v141, 0xbf52af12, v83
	v_add_f32_e32 v76, v106, v76
	v_fmamk_f32 v106, v157, 0x3eedf032, v132
	v_add_f32_e32 v77, v117, v77
	v_sub_f32_e32 v117, v67, v57
	v_mul_f32_e32 v149, 0xbf29c268, v83
	v_fmamk_f32 v83, v157, 0xbf52af12, v145
	v_add_f32_e32 v75, v121, v75
	v_fma_f32 v121, 0x3f62ad3f, v156, -v127
	v_fma_f32 v123, 0x3f116cb1, v156, -v141
	v_add_f32_e32 v79, v106, v79
	v_mul_f32_e32 v159, 0xbf3f9e67, v108
	v_add_f32_e32 v163, v56, v66
	v_mul_f32_e32 v106, 0xbf6f5d39, v117
	v_fma_f32 v108, 0xbf3f9e67, v156, -v149
	v_add_f32_e32 v45, v83, v45
	v_add_f32_e32 v83, v57, v67
	v_add_f32_e32 v78, v121, v78
	v_add_f32_e32 v44, v123, v44
	v_fmamk_f32 v121, v157, 0xbf29c268, v159
	v_fma_f32 v123, 0xbeb58ec6, v163, -v106
	v_add_f32_e32 v84, v108, v84
	v_sub_f32_e32 v165, v66, v56
	v_mul_f32_e32 v108, 0xbeb58ec6, v83
	v_add_f32_e32 v128, v121, v115
	v_add_f32_e32 v72, v123, v72
	v_mul_f32_e32 v123, 0xbf3f9e67, v83
	v_mul_f32_e32 v126, 0x3eedf032, v117
	v_fmamk_f32 v115, v165, 0xbf6f5d39, v108
	v_mul_f32_e32 v121, 0x3f29c268, v117
	v_mul_f32_e32 v142, 0xbf7e222b, v117
	v_fmamk_f32 v130, v165, 0x3f29c268, v123
	v_mul_f32_e32 v158, 0x3f52af12, v117
	v_add_f32_e32 v73, v115, v73
	v_fma_f32 v115, 0x3f62ad3f, v163, -v126
	v_fma_f32 v125, 0xbf3f9e67, v163, -v121
	v_add_f32_e32 v75, v130, v75
	v_mul_f32_e32 v153, 0x3e750f2a, v117
	v_mul_f32_e32 v155, 0xbf788fa5, v83
	v_add_f32_e32 v76, v115, v76
	v_fma_f32 v115, 0x3df6dbef, v163, -v142
	v_fma_f32 v130, 0x3f116cb1, v163, -v158
	v_mul_f32_e32 v138, 0x3f62ad3f, v83
	v_add_f32_e32 v74, v125, v74
	v_mul_f32_e32 v144, 0x3df6dbef, v83
	v_fma_f32 v125, 0xbf788fa5, v163, -v153
	v_add_f32_e32 v78, v115, v78
	v_fmamk_f32 v115, v165, 0x3e750f2a, v155
	v_mul_f32_e32 v167, 0x3f116cb1, v83
	v_add_f32_e32 v83, v130, v84
	v_sub_f32_e32 v84, v69, v63
	v_add_f32_e32 v44, v125, v44
	v_add_f32_e32 v45, v115, v45
	v_fmamk_f32 v139, v165, 0x3f52af12, v167
	v_add_f32_e32 v169, v62, v68
	v_mul_f32_e32 v115, 0xbf29c268, v84
	v_mul_f32_e32 v125, 0x3f7e222b, v84
	v_fmamk_f32 v137, v165, 0x3eedf032, v138
	v_fmamk_f32 v117, v165, 0xbf7e222b, v144
	v_add_f32_e32 v130, v63, v69
	v_add_f32_e32 v139, v139, v128
	v_fma_f32 v128, 0xbf3f9e67, v169, -v115
	v_fma_f32 v150, 0x3df6dbef, v169, -v125
	v_mul_f32_e32 v140, 0xbf52af12, v84
	v_add_f32_e32 v77, v137, v77
	v_add_f32_e32 v79, v117, v79
	v_sub_f32_e32 v170, v68, v62
	v_mul_f32_e32 v117, 0xbf3f9e67, v130
	v_mul_f32_e32 v137, 0x3df6dbef, v130
	v_add_f32_e32 v72, v128, v72
	v_add_f32_e32 v74, v150, v74
	v_fma_f32 v128, 0x3f116cb1, v169, -v140
	v_mul_f32_e32 v150, 0x3f116cb1, v130
	v_fmamk_f32 v143, v170, 0xbf29c268, v117
	v_fmamk_f32 v151, v170, 0x3f7e222b, v137
	v_mul_f32_e32 v152, 0x3e750f2a, v84
	v_mul_f32_e32 v154, 0xbf788fa5, v130
	;; [unrolled: 1-line block ×3, first 2 shown]
	v_add_f32_e32 v76, v128, v76
	v_fmamk_f32 v128, v170, 0xbf52af12, v150
	v_sub_f32_e32 v173, v71, v61
	v_add_f32_e32 v73, v143, v73
	v_add_f32_e32 v75, v151, v75
	v_fma_f32 v143, 0xbf788fa5, v169, -v152
	v_fmamk_f32 v151, v170, 0x3e750f2a, v154
	v_fma_f32 v160, 0x3f62ad3f, v169, -v162
	v_mul_f32_e32 v164, 0x3f62ad3f, v130
	v_add_f32_e32 v77, v128, v77
	v_mul_f32_e32 v168, 0xbf6f5d39, v84
	v_add_f32_e32 v84, v61, v71
	;; [unrolled: 2-line block ×4, first 2 shown]
	v_add_f32_e32 v79, v151, v79
	v_add_f32_e32 v178, v160, v44
	v_fmamk_f32 v44, v170, 0x3eedf032, v164
	v_sub_f32_e32 v176, v70, v60
	v_mul_f32_e32 v130, 0xbf788fa5, v84
	v_fma_f32 v143, 0xbeb58ec6, v169, -v168
	v_fmamk_f32 v151, v170, 0xbf6f5d39, v175
	v_fma_f32 v160, 0xbf788fa5, v174, -v128
	v_add_f32_e32 v179, v44, v45
	v_fmamk_f32 v45, v176, 0xbe750f2a, v130
	v_add_f32_e32 v83, v143, v83
	v_add_f32_e32 v180, v151, v139
	;; [unrolled: 1-line block ×3, first 2 shown]
	v_mul_f32_e32 v139, 0x3eedf032, v173
	v_mul_f32_e32 v143, 0x3f62ad3f, v84
	;; [unrolled: 1-line block ×5, first 2 shown]
	v_add_f32_e32 v45, v45, v73
	v_fma_f32 v72, 0x3f62ad3f, v174, -v139
	v_fmamk_f32 v73, v176, 0x3eedf032, v143
	v_fma_f32 v166, 0xbf3f9e67, v174, -v151
	v_fmamk_f32 v171, v176, 0xbf29c268, v160
	v_fma_f32 v172, 0x3f116cb1, v174, -v161
	v_add_f32_e32 v74, v72, v74
	v_add_f32_e32 v75, v73, v75
	;; [unrolled: 1-line block ×4, first 2 shown]
	v_mul_f32_e32 v166, 0x3f116cb1, v84
	v_add_f32_e32 v78, v172, v78
	v_mul_f32_e32 v171, 0xbf6f5d39, v173
	v_mul_f32_e32 v172, 0xbeb58ec6, v84
	;; [unrolled: 1-line block ×4, first 2 shown]
	v_fmamk_f32 v76, v176, 0x3f52af12, v166
	v_fma_f32 v77, 0xbeb58ec6, v174, -v171
	v_fmamk_f32 v84, v176, 0xbf6f5d39, v172
	v_fma_f32 v181, 0x3df6dbef, v174, -v173
	v_fmamk_f32 v182, v176, 0x3f7e222b, v177
	v_add_f32_e32 v79, v76, v79
	v_add_f32_e32 v76, v77, v178
	;; [unrolled: 1-line block ×5, first 2 shown]
	s_barrier
	buffer_gl0_inv
	s_and_saveexec_b32 s1, vcc_lo
	s_cbranch_execz .LBB0_17
; %bb.16:
	v_mul_f32_e32 v185, 0xbf6f5d39, v135
	v_mul_f32_e32 v179, 0xbeedf032, v135
	;; [unrolled: 1-line block ×8, first 2 shown]
	v_sub_f32_e32 v110, v110, v185
	v_add_f32_e32 v53, v53, v82
	v_add_f32_e32 v52, v52, v81
	v_mul_f32_e32 v189, 0xbf52af12, v148
	v_mul_f32_e32 v191, 0xbf6f5d39, v148
	;; [unrolled: 1-line block ×7, first 2 shown]
	v_sub_f32_e32 v131, v131, v135
	v_add_f32_e32 v110, v82, v110
	v_sub_f32_e32 v120, v120, v195
	v_add_f32_e32 v107, v184, v107
	v_add_f32_e32 v53, v55, v53
	;; [unrolled: 1-line block ×3, first 2 shown]
	v_mul_f32_e32 v199, 0xbf7e222b, v157
	v_mul_f32_e32 v201, 0xbe750f2a, v157
	;; [unrolled: 1-line block ×7, first 2 shown]
	v_add_f32_e32 v131, v82, v131
	v_sub_f32_e32 v146, v146, v148
	v_add_f32_e32 v110, v120, v110
	v_sub_f32_e32 v120, v132, v205
	v_add_f32_e32 v107, v81, v107
	v_add_f32_e32 v118, v194, v118
	v_sub_f32_e32 v104, v104, v183
	v_add_f32_e32 v53, v65, v53
	v_add_f32_e32 v54, v64, v54
	v_mul_f32_e32 v209, 0xbf6f5d39, v165
	v_mul_f32_e32 v211, 0x3f29c268, v165
	;; [unrolled: 1-line block ×7, first 2 shown]
	v_add_f32_e32 v131, v146, v131
	v_sub_f32_e32 v146, v159, v157
	v_add_f32_e32 v110, v120, v110
	v_sub_f32_e32 v120, v144, v215
	v_add_f32_e32 v107, v118, v107
	v_add_f32_e32 v118, v204, v127
	;; [unrolled: 1-line block ×3, first 2 shown]
	v_sub_f32_e32 v113, v113, v193
	v_add_f32_e32 v53, v67, v53
	v_add_f32_e32 v54, v66, v54
	v_mul_f32_e32 v182, 0x3df6dbef, v134
	v_mul_f32_e32 v135, 0xbf788fa5, v169
	v_add_f32_e32 v131, v146, v131
	v_sub_f32_e32 v146, v167, v165
	v_mul_f32_e32 v167, 0x3f52af12, v176
	v_add_f32_e32 v110, v120, v110
	v_sub_f32_e32 v120, v154, v224
	v_add_f32_e32 v107, v118, v107
	v_add_f32_e32 v118, v214, v142
	;; [unrolled: 1-line block ×3, first 2 shown]
	v_sub_f32_e32 v113, v124, v203
	v_mul_f32_e32 v178, 0x3f62ad3f, v134
	v_mul_f32_e32 v180, 0x3f116cb1, v134
	;; [unrolled: 1-line block ×10, first 2 shown]
	v_add_f32_e32 v53, v69, v53
	v_add_f32_e32 v54, v68, v54
	v_mul_f32_e32 v192, 0xbf788fa5, v147
	v_mul_f32_e32 v223, 0xbf52af12, v170
	v_add_f32_e32 v110, v120, v110
	v_sub_f32_e32 v120, v166, v167
	v_add_f32_e32 v107, v118, v107
	v_add_f32_e32 v118, v135, v152
	;; [unrolled: 1-line block ×3, first 2 shown]
	v_sub_f32_e32 v124, v138, v213
	v_add_f32_e32 v127, v182, v102
	v_mul_f32_e32 v188, 0x3f116cb1, v147
	v_mul_f32_e32 v190, 0xbeb58ec6, v147
	;; [unrolled: 1-line block ×4, first 2 shown]
	v_add_f32_e32 v131, v146, v131
	v_sub_f32_e32 v146, v175, v169
	v_mul_f32_e32 v169, 0x3f7e222b, v176
	v_add_f32_e32 v122, v134, v122
	v_sub_f32_e32 v119, v119, v187
	v_sub_f32_e32 v64, v95, v179
	v_add_f32_e32 v66, v178, v94
	v_add_f32_e32 v53, v71, v53
	;; [unrolled: 1-line block ×3, first 2 shown]
	v_mul_f32_e32 v229, 0xbf29c268, v176
	v_add_f32_e32 v102, v120, v110
	v_add_f32_e32 v107, v118, v107
	;; [unrolled: 1-line block ×3, first 2 shown]
	v_sub_f32_e32 v110, v150, v223
	v_add_f32_e32 v118, v81, v127
	v_add_f32_e32 v109, v192, v109
	v_sub_f32_e32 v99, v99, v181
	v_add_f32_e32 v98, v180, v98
	v_mul_f32_e32 v198, 0x3df6dbef, v156
	v_mul_f32_e32 v200, 0xbf788fa5, v156
	v_mul_f32_e32 v202, 0xbeb58ec6, v156
	v_mul_f32_e32 v206, 0x3f116cb1, v156
	v_mul_f32_e32 v156, 0xbf3f9e67, v156
	v_add_f32_e32 v131, v146, v131
	v_sub_f32_e32 v146, v177, v169
	v_add_f32_e32 v122, v81, v122
	v_add_f32_e32 v136, v147, v136
	v_add_f32_e32 v147, v82, v119
	v_sub_f32_e32 v133, v133, v197
	v_add_f32_e32 v114, v186, v114
	v_add_f32_e32 v64, v82, v64
	v_sub_f32_e32 v67, v97, v189
	v_add_f32_e32 v66, v81, v66
	v_add_f32_e32 v68, v188, v96
	;; [unrolled: 1-line block ×5, first 2 shown]
	v_sub_f32_e32 v110, v160, v229
	v_add_f32_e32 v109, v109, v118
	v_add_f32_e32 v118, v82, v99
	v_sub_f32_e32 v105, v105, v191
	v_add_f32_e32 v98, v81, v98
	v_add_f32_e32 v103, v190, v103
	v_mul_f32_e32 v208, 0xbeb58ec6, v163
	v_mul_f32_e32 v210, 0xbf3f9e67, v163
	;; [unrolled: 1-line block ×5, first 2 shown]
	v_add_f32_e32 v119, v146, v131
	v_add_f32_e32 v122, v136, v122
	;; [unrolled: 1-line block ×4, first 2 shown]
	v_sub_f32_e32 v136, v145, v207
	v_add_f32_e32 v114, v81, v114
	v_add_f32_e32 v129, v196, v129
	v_add_f32_e32 v64, v67, v64
	v_sub_f32_e32 v67, v101, v199
	v_add_f32_e32 v66, v68, v66
	v_add_f32_e32 v68, v198, v100
	;; [unrolled: 1-line block ×7, first 2 shown]
	v_sub_f32_e32 v110, v112, v201
	v_add_f32_e32 v98, v103, v98
	v_add_f32_e32 v103, v200, v111
	v_mul_f32_e32 v226, 0x3eedf032, v170
	v_add_f32_e32 v122, v131, v122
	v_add_f32_e32 v131, v163, v158
	;; [unrolled: 1-line block ×3, first 2 shown]
	v_sub_f32_e32 v136, v155, v217
	v_add_f32_e32 v114, v129, v114
	v_add_f32_e32 v129, v206, v141
	v_mul_f32_e32 v219, 0xbf29c268, v170
	v_add_f32_e32 v60, v67, v64
	v_sub_f32_e32 v61, v108, v209
	v_add_f32_e32 v64, v68, v66
	v_add_f32_e32 v62, v208, v106
	;; [unrolled: 1-line block ×4, first 2 shown]
	v_mul_f32_e32 v221, 0x3f7e222b, v170
	v_add_f32_e32 v104, v116, v109
	v_add_f32_e32 v109, v212, v126
	;; [unrolled: 1-line block ×3, first 2 shown]
	v_sub_f32_e32 v110, v123, v211
	v_add_f32_e32 v98, v103, v98
	v_add_f32_e32 v103, v210, v121
	v_mul_f32_e32 v231, 0xbf6f5d39, v176
	v_add_f32_e32 v122, v131, v122
	v_add_f32_e32 v131, v148, v168
	;; [unrolled: 1-line block ×3, first 2 shown]
	v_sub_f32_e32 v136, v164, v226
	v_add_f32_e32 v114, v129, v114
	v_add_f32_e32 v129, v216, v153
	v_mul_f32_e32 v170, 0xbf788fa5, v174
	v_mul_f32_e32 v227, 0xbe750f2a, v176
	v_add_f32_e32 v60, v61, v60
	v_sub_f32_e32 v61, v117, v219
	v_add_f32_e32 v56, v62, v64
	v_add_f32_e32 v57, v218, v115
	;; [unrolled: 1-line block ×4, first 2 shown]
	v_mul_f32_e32 v157, 0x3f62ad3f, v174
	v_mul_f32_e32 v159, 0x3eedf032, v176
	;; [unrolled: 1-line block ×3, first 2 shown]
	v_add_f32_e32 v104, v109, v104
	v_add_f32_e32 v109, v222, v140
	v_add_f32_e32 v105, v110, v105
	v_sub_f32_e32 v110, v137, v221
	v_add_f32_e32 v103, v103, v98
	v_add_f32_e32 v55, v220, v125
	v_mul_f32_e32 v165, 0x3f116cb1, v174
	v_mul_f32_e32 v230, 0xbeb58ec6, v174
	v_add_f32_e32 v122, v131, v122
	v_add_f32_e32 v131, v136, v133
	v_sub_f32_e32 v133, v172, v231
	v_add_f32_e32 v129, v129, v114
	v_add_f32_e32 v136, v225, v162
	v_mul_f32_e32 v134, 0x3df6dbef, v174
	v_add_f32_e32 v60, v61, v60
	v_sub_f32_e32 v58, v130, v227
	v_add_f32_e32 v56, v57, v56
	v_add_f32_e32 v57, v170, v128
	v_add_f32_e32 v53, v49, v53
	v_add_f32_e32 v59, v48, v54
	v_and_b32_e32 v61, 0xffff, v89
	v_add_f32_e32 v104, v109, v104
	v_add_f32_e32 v109, v228, v151
	;; [unrolled: 1-line block ×3, first 2 shown]
	v_sub_f32_e32 v110, v143, v159
	v_add_f32_e32 v55, v55, v103
	v_add_f32_e32 v65, v157, v139
	;; [unrolled: 1-line block ×11, first 2 shown]
	v_lshl_add_u32 v50, v61, 3, v87
	v_add_f32_e32 v98, v109, v104
	v_add_f32_e32 v52, v110, v105
	;; [unrolled: 1-line block ×6, first 2 shown]
	ds_write2_b64 v50, v[53:54], v[48:49] offset1:1
	ds_write2_b64 v50, v[51:52], v[98:99] offset0:2 offset1:3
	ds_write2_b64 v50, v[101:102], v[113:114] offset0:4 offset1:5
	;; [unrolled: 1-line block ×5, first 2 shown]
	ds_write_b64 v50, v[44:45] offset:96
.LBB0_17:
	s_or_b32 exec_lo, exec_lo, s1
	v_add_nc_u32_e32 v52, 0x800, v88
	v_add_nc_u32_e32 v62, 0x1000, v88
	s_waitcnt lgkmcnt(0)
	s_barrier
	buffer_gl0_inv
	ds_read2_b64 v[48:51], v88 offset1:143
	ds_read2_b64 v[56:59], v52 offset0:30 offset1:173
	ds_read2_b64 v[52:55], v62 offset0:60 offset1:203
	ds_read_b64 v[60:61], v88 offset:6864
	s_and_saveexec_b32 s1, s0
	s_cbranch_execz .LBB0_19
; %bb.18:
	v_add_nc_u32_e32 v44, 0x400, v88
	v_add_nc_u32_e32 v45, 0x1800, v88
	ds_read_b64 v[83:84], v88 offset:728
	ds_read2_b64 v[72:75], v62 offset0:8 offset1:151
	ds_read2_b64 v[76:79], v44 offset0:106 offset1:249
	ds_read2_b64 v[44:47], v45 offset0:38 offset1:181
.LBB0_19:
	s_or_b32 exec_lo, exec_lo, s1
	s_waitcnt lgkmcnt(3)
	v_mul_f32_e32 v62, v21, v51
	v_mul_f32_e32 v21, v21, v50
	s_waitcnt lgkmcnt(2)
	v_mul_f32_e32 v63, v23, v57
	v_mul_f32_e32 v23, v23, v56
	s_waitcnt lgkmcnt(0)
	v_fmac_f32_e32 v62, v20, v50
	v_fma_f32 v20, v20, v51, -v21
	v_mul_f32_e32 v21, v17, v59
	v_mul_f32_e32 v17, v17, v58
	v_fmac_f32_e32 v63, v22, v56
	v_fma_f32 v22, v22, v57, -v23
	v_mul_f32_e32 v23, v13, v55
	v_fmac_f32_e32 v21, v16, v58
	v_fma_f32 v16, v16, v59, -v17
	v_mul_f32_e32 v17, v15, v61
	v_mul_f32_e32 v15, v15, v60
	;; [unrolled: 1-line block ×5, first 2 shown]
	v_fmac_f32_e32 v17, v14, v60
	v_fma_f32 v14, v14, v61, -v15
	v_fmac_f32_e32 v23, v12, v54
	v_fma_f32 v12, v12, v55, -v13
	;; [unrolled: 2-line block ×3, first 2 shown]
	v_add_f32_e32 v13, v62, v17
	v_add_f32_e32 v18, v20, v14
	v_sub_f32_e32 v14, v20, v14
	v_add_f32_e32 v19, v63, v23
	v_add_f32_e32 v20, v22, v12
	v_sub_f32_e32 v23, v63, v23
	v_sub_f32_e32 v12, v22, v12
	v_add_f32_e32 v22, v21, v50
	v_add_f32_e32 v51, v16, v15
	v_sub_f32_e32 v21, v50, v21
	;; [unrolled: 4-line block ×3, first 2 shown]
	v_sub_f32_e32 v52, v19, v13
	v_sub_f32_e32 v53, v20, v18
	;; [unrolled: 1-line block ×6, first 2 shown]
	v_add_f32_e32 v13, v21, v23
	v_add_f32_e32 v55, v15, v12
	v_sub_f32_e32 v56, v21, v23
	v_sub_f32_e32 v57, v15, v12
	v_add_f32_e32 v16, v22, v16
	v_add_f32_e32 v22, v51, v50
	v_sub_f32_e32 v23, v23, v17
	v_sub_f32_e32 v50, v12, v14
	;; [unrolled: 1-line block ×4, first 2 shown]
	v_add_f32_e32 v17, v13, v17
	v_add_f32_e32 v14, v55, v14
	;; [unrolled: 1-line block ×4, first 2 shown]
	v_mul_f32_e32 v48, 0x3f4a47b2, v54
	v_mul_f32_e32 v18, 0x3f4a47b2, v18
	v_mul_f32_e32 v49, 0x3d64c772, v19
	v_mul_f32_e32 v51, 0x3d64c772, v20
	v_mul_f32_e32 v54, 0x3f08b237, v56
	v_mul_f32_e32 v55, 0x3f08b237, v57
	v_mul_f32_e32 v56, 0xbf5ff5aa, v23
	v_mul_f32_e32 v57, 0xbf5ff5aa, v50
	v_fmamk_f32 v16, v16, 0xbf955555, v12
	v_fmamk_f32 v22, v22, 0xbf955555, v13
	v_fmamk_f32 v19, v19, 0x3d64c772, v48
	v_fmamk_f32 v20, v20, 0x3d64c772, v18
	v_fma_f32 v49, 0x3f3bfb3b, v52, -v49
	v_fma_f32 v51, 0x3f3bfb3b, v53, -v51
	;; [unrolled: 1-line block ×4, first 2 shown]
	v_fmamk_f32 v52, v21, 0xbeae86e6, v54
	v_fmamk_f32 v53, v15, 0xbeae86e6, v55
	v_fma_f32 v23, 0xbf5ff5aa, v23, -v54
	v_fma_f32 v50, 0xbf5ff5aa, v50, -v55
	;; [unrolled: 1-line block ×4, first 2 shown]
	v_add_f32_e32 v56, v19, v16
	v_add_f32_e32 v57, v20, v22
	v_fmac_f32_e32 v52, 0xbee1c552, v17
	v_fmac_f32_e32 v53, 0xbee1c552, v14
	v_add_f32_e32 v20, v49, v16
	v_add_f32_e32 v21, v51, v22
	;; [unrolled: 1-line block ×4, first 2 shown]
	v_fmac_f32_e32 v23, 0xbee1c552, v17
	v_fmac_f32_e32 v55, 0xbee1c552, v14
	;; [unrolled: 1-line block ×4, first 2 shown]
	v_add_f32_e32 v14, v53, v56
	v_sub_f32_e32 v15, v57, v52
	v_add_f32_e32 v16, v55, v48
	v_sub_f32_e32 v17, v49, v54
	v_sub_f32_e32 v18, v20, v50
	v_add_f32_e32 v19, v23, v21
	v_add_f32_e32 v20, v50, v20
	v_sub_f32_e32 v21, v21, v23
	v_sub_f32_e32 v22, v48, v55
	v_add_f32_e32 v23, v54, v49
	v_sub_f32_e32 v48, v56, v53
	v_add_f32_e32 v49, v52, v57
	s_barrier
	buffer_gl0_inv
	ds_write2_b64 v93, v[12:13], v[14:15] offset1:13
	ds_write2_b64 v93, v[16:17], v[18:19] offset0:26 offset1:39
	ds_write2_b64 v93, v[20:21], v[22:23] offset0:52 offset1:65
	ds_write_b64 v93, v[48:49] offset:624
	s_and_saveexec_b32 s1, s0
	s_cbranch_execz .LBB0_21
; %bb.20:
	v_mul_f32_e32 v14, v5, v77
	v_mul_f32_e32 v15, v11, v47
	;; [unrolled: 1-line block ×7, first 2 shown]
	v_fmac_f32_e32 v14, v4, v76
	v_fmac_f32_e32 v15, v10, v46
	;; [unrolled: 1-line block ×6, first 2 shown]
	v_mul_f32_e32 v5, v5, v76
	v_fma_f32 v10, v10, v47, -v11
	v_mul_f32_e32 v9, v9, v44
	v_mul_f32_e32 v7, v7, v78
	;; [unrolled: 1-line block ×4, first 2 shown]
	v_sub_f32_e32 v11, v14, v15
	v_add_f32_e32 v14, v15, v14
	v_add_f32_e32 v15, v18, v16
	v_sub_f32_e32 v17, v12, v13
	v_fma_f32 v4, v4, v77, -v5
	v_fma_f32 v5, v8, v45, -v9
	;; [unrolled: 1-line block ×5, first 2 shown]
	v_sub_f32_e32 v9, v16, v18
	v_add_f32_e32 v12, v13, v12
	v_add_f32_e32 v16, v15, v14
	;; [unrolled: 1-line block ×5, first 2 shown]
	v_sub_f32_e32 v19, v17, v9
	v_sub_f32_e32 v21, v11, v17
	v_add_f32_e32 v17, v17, v9
	v_sub_f32_e32 v18, v14, v12
	v_sub_f32_e32 v2, v2, v0
	;; [unrolled: 1-line block ×4, first 2 shown]
	v_add_f32_e32 v12, v12, v16
	v_sub_f32_e32 v4, v4, v10
	v_add_f32_e32 v3, v8, v7
	v_sub_f32_e32 v20, v7, v1
	v_sub_f32_e32 v22, v1, v8
	v_add_f32_e32 v17, v17, v11
	v_mul_f32_e32 v16, 0x3f4a47b2, v18
	v_sub_f32_e32 v10, v2, v5
	v_add_f32_e32 v0, v83, v12
	v_sub_f32_e32 v9, v9, v11
	v_sub_f32_e32 v11, v4, v2
	;; [unrolled: 1-line block ×4, first 2 shown]
	v_add_f32_e32 v2, v2, v5
	v_sub_f32_e32 v14, v15, v14
	v_add_f32_e32 v3, v1, v3
	v_mul_f32_e32 v19, 0x3f08b237, v19
	v_mul_f32_e32 v20, 0x3f4a47b2, v20
	;; [unrolled: 1-line block ×5, first 2 shown]
	v_fmamk_f32 v6, v6, 0x3d64c772, v16
	v_fmamk_f32 v12, v12, 0xbf955555, v0
	v_mul_f32_e32 v15, 0xbf5ff5aa, v8
	v_add_f32_e32 v2, v2, v4
	v_fma_f32 v4, 0xbf3bfb3b, v14, -v16
	v_add_f32_e32 v1, v84, v3
	v_fmamk_f32 v23, v21, 0xbeae86e6, v19
	v_fmamk_f32 v44, v22, 0x3d64c772, v20
	v_mul_f32_e32 v22, 0xbf5ff5aa, v9
	v_fmamk_f32 v46, v11, 0xbeae86e6, v10
	v_fma_f32 v5, 0xbf3bfb3b, v7, -v20
	v_fma_f32 v15, 0x3eae86e6, v11, -v15
	v_add_f32_e32 v16, v6, v12
	v_add_f32_e32 v6, v4, v12
	v_fma_f32 v4, 0x3f3bfb3b, v7, -v13
	v_fma_f32 v9, 0xbf5ff5aa, v9, -v19
	;; [unrolled: 1-line block ×3, first 2 shown]
	v_mov_b32_e32 v7, 0x5b
	v_fmamk_f32 v45, v3, 0xbf955555, v1
	v_fmac_f32_e32 v46, 0xbee1c552, v2
	v_fmac_f32_e32 v15, 0xbee1c552, v2
	;; [unrolled: 1-line block ×3, first 2 shown]
	v_mul_u32_u24_sdwa v2, v91, v7 dst_sel:DWORD dst_unused:UNUSED_PAD src0_sel:WORD_0 src1_sel:DWORD
	v_fma_f32 v21, 0x3eae86e6, v21, -v22
	v_fma_f32 v8, 0x3f3bfb3b, v14, -v18
	v_fmac_f32_e32 v23, 0xbee1c552, v17
	v_add_f32_e32 v44, v44, v45
	v_add_nc_u32_sdwa v2, v2, v92 dst_sel:DWORD dst_unused:UNUSED_PAD src0_sel:DWORD src1_sel:BYTE_0
	v_fmac_f32_e32 v21, 0xbee1c552, v17
	v_add_f32_e32 v20, v5, v45
	v_add_f32_e32 v10, v4, v45
	v_fmac_f32_e32 v9, 0xbee1c552, v17
	v_add_f32_e32 v14, v8, v12
	v_sub_f32_e32 v13, v44, v23
	v_add_f32_e32 v12, v46, v16
	v_lshl_add_u32 v17, v2, 3, v87
	v_sub_f32_e32 v7, v10, v9
	v_add_f32_e32 v9, v9, v10
	v_sub_f32_e32 v8, v14, v19
	v_sub_f32_e32 v11, v20, v21
	v_add_f32_e32 v10, v15, v6
	v_add_f32_e32 v5, v21, v20
	v_sub_f32_e32 v4, v6, v15
	v_add_f32_e32 v6, v19, v14
	v_add_f32_e32 v3, v23, v44
	v_sub_f32_e32 v2, v16, v46
	ds_write2_b64 v17, v[0:1], v[12:13] offset1:13
	ds_write2_b64 v17, v[10:11], v[8:9] offset0:26 offset1:39
	ds_write2_b64 v17, v[6:7], v[4:5] offset0:52 offset1:65
	ds_write_b64 v17, v[2:3] offset:624
.LBB0_21:
	s_or_b32 exec_lo, exec_lo, s1
	s_waitcnt lgkmcnt(0)
	s_barrier
	buffer_gl0_inv
	ds_read2_b64 v[0:3], v88 offset0:91 offset1:182
	v_add_nc_u32_e32 v4, 0x800, v88
	v_add_nc_u32_e32 v8, 0xc00, v88
	ds_read2_b64 v[4:7], v4 offset0:17 offset1:108
	ds_read2_b64 v[8:11], v8 offset0:71 offset1:162
	ds_read_b64 v[20:21], v88
	v_add_nc_u32_e32 v12, 0x1000, v88
	v_add_nc_u32_e32 v16, 0x1800, v88
	ds_read2_b64 v[12:15], v12 offset0:125 offset1:216
	ds_read2_b64 v[16:19], v16 offset0:51 offset1:142
	s_waitcnt lgkmcnt(5)
	v_mul_f32_e32 v22, v41, v1
	v_mul_f32_e32 v23, v41, v0
	;; [unrolled: 1-line block ×4, first 2 shown]
	v_fmac_f32_e32 v22, v40, v0
	v_fma_f32 v0, v40, v1, -v23
	v_fmac_f32_e32 v41, v42, v2
	v_fma_f32 v2, v42, v3, -v43
	s_waitcnt lgkmcnt(4)
	v_mul_f32_e32 v3, v37, v5
	v_mul_f32_e32 v1, v37, v4
	;; [unrolled: 1-line block ×4, first 2 shown]
	s_waitcnt lgkmcnt(3)
	v_mul_f32_e32 v39, v29, v9
	v_fmac_f32_e32 v3, v36, v4
	v_fma_f32 v4, v36, v5, -v1
	v_fma_f32 v5, v38, v7, -v37
	s_waitcnt lgkmcnt(2)
	v_add_f32_e32 v1, v20, v22
	v_add_f32_e32 v7, v21, v0
	v_mul_f32_e32 v29, v29, v8
	v_fmac_f32_e32 v23, v38, v6
	v_mul_f32_e32 v6, v31, v11
	v_add_f32_e32 v1, v1, v41
	v_add_f32_e32 v7, v7, v2
	v_fmac_f32_e32 v39, v28, v8
	v_fma_f32 v8, v28, v9, -v29
	v_mul_f32_e32 v9, v31, v10
	v_add_f32_e32 v1, v1, v3
	v_add_f32_e32 v7, v7, v4
	v_fmac_f32_e32 v6, v30, v10
	s_waitcnt lgkmcnt(1)
	v_mul_f32_e32 v10, v25, v13
	v_mul_f32_e32 v25, v25, v12
	v_add_f32_e32 v1, v1, v23
	v_add_f32_e32 v7, v7, v5
	v_fma_f32 v9, v30, v11, -v9
	v_fmac_f32_e32 v10, v24, v12
	v_fma_f32 v11, v24, v13, -v25
	v_add_f32_e32 v1, v1, v39
	v_add_f32_e32 v7, v7, v8
	v_mul_f32_e32 v12, v27, v15
	v_mul_f32_e32 v13, v27, v14
	s_waitcnt lgkmcnt(0)
	v_mul_f32_e32 v24, v33, v17
	v_add_f32_e32 v1, v1, v6
	v_add_f32_e32 v7, v7, v9
	v_fmac_f32_e32 v12, v26, v14
	v_fma_f32 v13, v26, v15, -v13
	v_fmac_f32_e32 v24, v32, v16
	v_mul_f32_e32 v14, v35, v18
	v_mul_f32_e32 v16, v33, v16
	v_add_f32_e32 v1, v1, v10
	v_add_f32_e32 v7, v7, v11
	v_mul_f32_e32 v15, v35, v19
	v_fma_f32 v14, v34, v19, -v14
	v_fma_f32 v16, v32, v17, -v16
	v_add_f32_e32 v1, v1, v12
	v_add_f32_e32 v7, v7, v13
	v_fmac_f32_e32 v15, v34, v18
	v_sub_f32_e32 v17, v0, v14
	v_add_f32_e32 v19, v0, v14
	v_add_f32_e32 v0, v1, v24
	;; [unrolled: 1-line block ×4, first 2 shown]
	v_mul_f32_e32 v25, 0xbf0a6770, v17
	v_sub_f32_e32 v7, v22, v15
	v_mul_f32_e32 v22, 0x3f575c64, v19
	v_add_f32_e32 v1, v1, v14
	v_mul_f32_e32 v14, 0xbf68dda4, v17
	v_mul_f32_e32 v28, 0x3ed4b147, v19
	;; [unrolled: 1-line block ×8, first 2 shown]
	v_sub_f32_e32 v40, v2, v16
	v_fmamk_f32 v26, v18, 0x3f575c64, v25
	v_fma_f32 v25, 0x3f575c64, v18, -v25
	v_fmamk_f32 v27, v18, 0x3ed4b147, v14
	v_fma_f32 v14, 0x3ed4b147, v18, -v14
	;; [unrolled: 2-line block ×4, first 2 shown]
	v_fmamk_f32 v38, v18, 0xbf75a155, v17
	v_fmamk_f32 v42, v7, 0x3e903f40, v19
	v_fma_f32 v17, 0xbf75a155, v18, -v17
	v_add_f32_e32 v2, v2, v16
	v_add_f32_e32 v16, v41, v24
	v_mul_f32_e32 v18, 0xbf68dda4, v40
	v_add_f32_e32 v0, v0, v15
	v_fmamk_f32 v15, v7, 0x3f0a6770, v22
	v_add_f32_e32 v26, v20, v26
	v_fmac_f32_e32 v22, 0xbf0a6770, v7
	v_fmamk_f32 v30, v7, 0x3f68dda4, v28
	v_fmac_f32_e32 v28, 0xbf68dda4, v7
	v_fmamk_f32 v33, v7, 0x3f7d64f0, v31
	;; [unrolled: 2-line block ×3, first 2 shown]
	v_fmac_f32_e32 v35, 0xbf4178ce, v7
	v_fmac_f32_e32 v19, 0xbe903f40, v7
	v_sub_f32_e32 v7, v41, v24
	v_mul_f32_e32 v24, 0x3ed4b147, v2
	v_add_f32_e32 v41, v21, v42
	v_fmamk_f32 v42, v16, 0x3ed4b147, v18
	v_add_f32_e32 v15, v21, v15
	v_add_f32_e32 v25, v20, v25
	;; [unrolled: 1-line block ×18, first 2 shown]
	v_fmamk_f32 v20, v7, 0x3f68dda4, v24
	v_mul_f32_e32 v21, 0xbf4178ce, v40
	v_add_f32_e32 v26, v42, v26
	v_fma_f32 v18, 0x3ed4b147, v16, -v18
	v_fmac_f32_e32 v24, 0xbf68dda4, v7
	v_mul_f32_e32 v42, 0xbf27a4f4, v2
	v_add_f32_e32 v15, v20, v15
	v_fmamk_f32 v20, v16, 0xbf27a4f4, v21
	v_add_f32_e32 v18, v18, v25
	v_add_f32_e32 v22, v24, v22
	v_mul_f32_e32 v24, 0x3e903f40, v40
	v_fmamk_f32 v25, v7, 0x3f4178ce, v42
	v_fma_f32 v21, 0xbf27a4f4, v16, -v21
	v_fmac_f32_e32 v42, 0xbf4178ce, v7
	v_mul_f32_e32 v43, 0xbf75a155, v2
	v_add_f32_e32 v20, v20, v27
	v_fmamk_f32 v27, v16, 0xbf75a155, v24
	v_add_f32_e32 v25, v25, v30
	v_add_f32_e32 v14, v21, v14
	;; [unrolled: 1-line block ×3, first 2 shown]
	v_fmamk_f32 v28, v7, 0xbe903f40, v43
	v_mul_f32_e32 v30, 0x3f7d64f0, v40
	v_add_f32_e32 v27, v27, v32
	v_fma_f32 v24, 0xbf75a155, v16, -v24
	v_mul_f32_e32 v32, 0xbe11bafb, v2
	v_add_f32_e32 v28, v28, v33
	v_fmamk_f32 v33, v16, 0xbe11bafb, v30
	v_mul_f32_e32 v40, 0x3f0a6770, v40
	v_fma_f32 v30, 0xbe11bafb, v16, -v30
	v_add_f32_e32 v24, v24, v29
	v_fmamk_f32 v29, v7, 0xbf7d64f0, v32
	v_add_f32_e32 v33, v33, v36
	v_fmac_f32_e32 v32, 0x3f7d64f0, v7
	v_fmamk_f32 v36, v16, 0x3f575c64, v40
	v_add_f32_e32 v30, v30, v34
	v_sub_f32_e32 v34, v4, v13
	v_add_f32_e32 v29, v29, v37
	v_mul_f32_e32 v2, 0x3f575c64, v2
	v_add_f32_e32 v32, v32, v35
	v_add_f32_e32 v35, v36, v38
	;; [unrolled: 1-line block ×3, first 2 shown]
	v_mul_f32_e32 v38, 0xbf7d64f0, v34
	v_add_f32_e32 v4, v4, v13
	v_fmac_f32_e32 v43, 0x3e903f40, v7
	v_fmamk_f32 v36, v7, 0xbf0a6770, v2
	v_fma_f32 v13, 0x3f575c64, v16, -v40
	v_fmac_f32_e32 v2, 0x3f0a6770, v7
	v_sub_f32_e32 v3, v3, v12
	v_fmamk_f32 v7, v37, 0xbe11bafb, v38
	v_mul_f32_e32 v12, 0xbe11bafb, v4
	v_add_f32_e32 v16, v36, v41
	v_add_f32_e32 v13, v13, v17
	;; [unrolled: 1-line block ×4, first 2 shown]
	v_fmamk_f32 v17, v3, 0x3f7d64f0, v12
	v_mul_f32_e32 v19, 0x3e903f40, v34
	v_fma_f32 v26, 0xbe11bafb, v37, -v38
	v_fmac_f32_e32 v12, 0xbf7d64f0, v3
	v_mul_f32_e32 v36, 0xbf75a155, v4
	v_add_f32_e32 v15, v17, v15
	v_fmamk_f32 v17, v37, 0xbf75a155, v19
	v_add_f32_e32 v18, v26, v18
	v_add_f32_e32 v12, v12, v22
	v_fmamk_f32 v22, v3, 0xbe903f40, v36
	v_mul_f32_e32 v26, 0x3f68dda4, v34
	v_add_f32_e32 v17, v17, v20
	v_fma_f32 v19, 0xbf75a155, v37, -v19
	v_fmac_f32_e32 v36, 0x3e903f40, v3
	v_add_f32_e32 v20, v22, v25
	v_fmamk_f32 v22, v37, 0x3ed4b147, v26
	v_mul_f32_e32 v25, 0x3ed4b147, v4
	v_add_f32_e32 v14, v19, v14
	v_add_f32_e32 v19, v36, v21
	v_mul_f32_e32 v21, 0xbf0a6770, v34
	v_add_f32_e32 v22, v22, v27
	v_fmamk_f32 v27, v3, 0xbf68dda4, v25
	v_mul_f32_e32 v38, 0x3f575c64, v4
	v_fma_f32 v26, 0x3ed4b147, v37, -v26
	v_fmamk_f32 v36, v37, 0x3f575c64, v21
	v_mul_f32_e32 v4, 0xbf27a4f4, v4
	v_add_f32_e32 v27, v27, v28
	v_fmamk_f32 v28, v3, 0x3f0a6770, v38
	v_fma_f32 v21, 0x3f575c64, v37, -v21
	v_fmac_f32_e32 v38, 0xbf0a6770, v3
	v_add_f32_e32 v31, v43, v31
	v_fmac_f32_e32 v25, 0x3f68dda4, v3
	v_add_f32_e32 v24, v26, v24
	v_add_f32_e32 v26, v36, v33
	v_fmamk_f32 v33, v3, 0x3f4178ce, v4
	v_add_f32_e32 v21, v21, v30
	v_add_f32_e32 v30, v38, v32
	v_sub_f32_e32 v32, v5, v11
	v_add_f32_e32 v25, v25, v31
	v_mul_f32_e32 v31, 0xbf4178ce, v34
	v_add_f32_e32 v16, v33, v16
	v_add_f32_e32 v33, v23, v10
	;; [unrolled: 1-line block ×3, first 2 shown]
	v_mul_f32_e32 v11, 0xbf4178ce, v32
	v_fmac_f32_e32 v4, 0xbf4178ce, v3
	v_add_f32_e32 v28, v28, v29
	v_fmamk_f32 v29, v37, 0xbf27a4f4, v31
	v_fma_f32 v31, 0xbf27a4f4, v37, -v31
	v_sub_f32_e32 v3, v23, v10
	v_mul_f32_e32 v10, 0xbf27a4f4, v5
	v_fmamk_f32 v23, v33, 0xbf27a4f4, v11
	v_add_f32_e32 v2, v4, v2
	v_mul_f32_e32 v4, 0x3f7d64f0, v32
	v_add_f32_e32 v13, v31, v13
	v_fmamk_f32 v31, v3, 0x3f4178ce, v10
	v_add_f32_e32 v7, v23, v7
	v_fmac_f32_e32 v10, 0xbf4178ce, v3
	v_fmamk_f32 v23, v33, 0xbe11bafb, v4
	v_fma_f32 v11, 0xbf27a4f4, v33, -v11
	v_add_f32_e32 v15, v31, v15
	v_mul_f32_e32 v31, 0xbe11bafb, v5
	v_add_f32_e32 v10, v10, v12
	v_add_f32_e32 v12, v23, v17
	v_mul_f32_e32 v17, 0xbf0a6770, v32
	v_add_f32_e32 v11, v11, v18
	v_fmamk_f32 v18, v3, 0xbf7d64f0, v31
	v_fma_f32 v4, 0xbe11bafb, v33, -v4
	v_mul_f32_e32 v23, 0x3f575c64, v5
	v_fmamk_f32 v34, v33, 0x3f575c64, v17
	v_fmac_f32_e32 v31, 0x3f7d64f0, v3
	v_add_f32_e32 v18, v18, v20
	v_add_f32_e32 v14, v4, v14
	v_fmamk_f32 v4, v3, 0x3f0a6770, v23
	v_add_f32_e32 v20, v34, v22
	v_mul_f32_e32 v22, 0xbe903f40, v32
	v_fma_f32 v17, 0x3f575c64, v33, -v17
	v_add_f32_e32 v19, v31, v19
	v_fmac_f32_e32 v23, 0xbf0a6770, v3
	v_add_f32_e32 v27, v4, v27
	v_mul_f32_e32 v4, 0xbf75a155, v5
	v_fmamk_f32 v31, v33, 0xbf75a155, v22
	v_add_f32_e32 v17, v17, v24
	v_mul_f32_e32 v24, 0x3f68dda4, v32
	v_add_f32_e32 v29, v29, v35
	v_add_f32_e32 v23, v23, v25
	v_fmamk_f32 v25, v3, 0x3e903f40, v4
	v_add_f32_e32 v26, v31, v26
	v_fma_f32 v22, 0xbf75a155, v33, -v22
	v_fmac_f32_e32 v4, 0xbe903f40, v3
	v_fmamk_f32 v31, v33, 0x3ed4b147, v24
	v_add_f32_e32 v25, v25, v28
	v_mul_f32_e32 v5, 0x3ed4b147, v5
	v_add_f32_e32 v21, v22, v21
	v_add_f32_e32 v22, v4, v30
	;; [unrolled: 1-line block ×3, first 2 shown]
	v_sub_f32_e32 v29, v8, v9
	v_add_f32_e32 v30, v8, v9
	v_fmamk_f32 v4, v3, 0xbf68dda4, v5
	v_fma_f32 v24, 0x3ed4b147, v33, -v24
	v_add_f32_e32 v31, v39, v6
	v_mul_f32_e32 v8, 0xbe903f40, v29
	v_sub_f32_e32 v32, v39, v6
	v_mul_f32_e32 v6, 0xbf75a155, v30
	v_fmac_f32_e32 v5, 0x3f68dda4, v3
	v_add_f32_e32 v33, v4, v16
	v_fmamk_f32 v3, v31, 0xbf75a155, v8
	v_add_f32_e32 v24, v24, v13
	v_fmamk_f32 v4, v32, 0x3e903f40, v6
	v_mul_f32_e32 v9, 0x3f0a6770, v29
	v_mul_f32_e32 v13, 0x3f575c64, v30
	v_add_f32_e32 v2, v5, v2
	v_add_f32_e32 v3, v3, v7
	v_fma_f32 v5, 0xbf75a155, v31, -v8
	v_fmac_f32_e32 v6, 0xbe903f40, v32
	v_add_f32_e32 v4, v4, v15
	v_fmamk_f32 v7, v31, 0x3f575c64, v9
	v_mul_f32_e32 v15, 0xbf4178ce, v29
	v_fmamk_f32 v8, v32, 0xbf0a6770, v13
	v_fmac_f32_e32 v13, 0x3f0a6770, v32
	v_mul_f32_e32 v16, 0xbf27a4f4, v30
	v_add_f32_e32 v6, v6, v10
	v_add_f32_e32 v7, v7, v12
	v_fma_f32 v9, 0x3f575c64, v31, -v9
	v_add_f32_e32 v8, v8, v18
	v_add_f32_e32 v10, v13, v19
	v_fmamk_f32 v12, v32, 0x3f4178ce, v16
	v_mul_f32_e32 v18, 0x3f68dda4, v29
	v_fma_f32 v13, 0xbf27a4f4, v31, -v15
	v_fmac_f32_e32 v16, 0xbf4178ce, v32
	v_mul_f32_e32 v19, 0x3ed4b147, v30
	v_add_f32_e32 v9, v9, v14
	v_add_f32_e32 v5, v5, v11
	;; [unrolled: 1-line block ×4, first 2 shown]
	v_fma_f32 v17, 0x3ed4b147, v31, -v18
	v_mul_f32_e32 v23, 0xbe11bafb, v30
	v_fmamk_f32 v11, v31, 0xbf27a4f4, v15
	v_fmamk_f32 v15, v31, 0x3ed4b147, v18
	v_fmamk_f32 v16, v32, 0xbf68dda4, v19
	v_mul_f32_e32 v18, 0xbf7d64f0, v29
	v_add_f32_e32 v17, v17, v21
	v_fmac_f32_e32 v19, 0x3f68dda4, v32
	v_fmamk_f32 v21, v32, 0x3f7d64f0, v23
	v_fmac_f32_e32 v23, 0xbf7d64f0, v32
	v_add_f32_e32 v11, v11, v20
	v_add_f32_e32 v16, v16, v25
	v_fmamk_f32 v20, v31, 0xbe11bafb, v18
	v_fma_f32 v25, 0xbe11bafb, v31, -v18
	v_add_f32_e32 v18, v19, v22
	v_add_f32_e32 v22, v23, v2
	ds_write_b64 v90, v[0:1]
	v_add_nc_u32_e32 v0, 0x800, v90
	v_add_nc_u32_e32 v2, 0x1000, v90
	;; [unrolled: 1-line block ×3, first 2 shown]
	v_add_f32_e32 v12, v12, v27
	v_add_f32_e32 v15, v15, v26
	;; [unrolled: 1-line block ×5, first 2 shown]
	v_add_nc_u32_e32 v23, 0xc00, v90
	ds_write2_b64 v90, v[3:4], v[7:8] offset0:91 offset1:182
	ds_write2_b64 v0, v[11:12], v[15:16] offset0:17 offset1:108
	;; [unrolled: 1-line block ×5, first 2 shown]
	s_waitcnt lgkmcnt(0)
	s_barrier
	buffer_gl0_inv
	s_and_b32 exec_lo, exec_lo, vcc_lo
	s_cbranch_execz .LBB0_23
; %bb.22:
	s_clause 0x3
	global_load_dwordx2 v[27:28], v86, s[14:15]
	global_load_dwordx2 v[29:30], v86, s[14:15] offset:616
	global_load_dwordx2 v[31:32], v86, s[14:15] offset:1232
	global_load_dwordx2 v[33:34], v86, s[14:15] offset:1848
	v_add_co_u32 v7, s0, s14, v86
	v_add_co_ci_u32_e64 v8, null, s15, 0, s0
	v_add_nc_u32_e32 v15, 0x400, v90
	v_add_co_u32 v3, vcc_lo, 0x800, v7
	v_add_co_ci_u32_e32 v4, vcc_lo, 0, v8, vcc_lo
	v_add_co_u32 v5, vcc_lo, 0x1000, v7
	v_add_co_ci_u32_e32 v6, vcc_lo, 0, v8, vcc_lo
	v_add_co_u32 v43, vcc_lo, 0x1800, v7
	s_clause 0x3
	global_load_dwordx2 v[35:36], v[3:4], off offset:416
	global_load_dwordx2 v[37:38], v[3:4], off offset:1032
	;; [unrolled: 1-line block ×4, first 2 shown]
	v_add_co_ci_u32_e32 v44, vcc_lo, 0, v8, vcc_lo
	s_clause 0x3
	global_load_dwordx2 v[45:46], v[5:6], off offset:832
	global_load_dwordx2 v[47:48], v[5:6], off offset:1448
	global_load_dwordx2 v[49:50], v[43:44], off offset:16
	global_load_dwordx2 v[51:52], v[43:44], off offset:632
	v_mad_u64_u32 v[3:4], null, s6, v80, 0
	v_mad_u64_u32 v[5:6], null, s4, v85, 0
	ds_read2_b64 v[15:18], v15 offset0:103 offset1:180
	ds_read_b64 v[53:54], v90
	ds_read2_b64 v[11:14], v2 offset0:27 offset1:104
	v_add_nc_u32_e32 v2, 0x1400, v90
	ds_read2_b64 v[19:22], v1 offset0:79 offset1:156
	s_mul_i32 s2, s5, 0x268
	v_mad_u64_u32 v[7:8], null, s7, v80, v[4:5]
	ds_read2_b64 v[23:26], v2 offset0:53 offset1:130
	s_mul_hi_u32 s3, s4, 0x268
	s_mulk_i32 s4, 0x268
	s_add_i32 s3, s3, s2
	s_mov_b32 s0, 0x27a3ee9c
	s_mov_b32 s1, 0x3f505e1d
	v_mad_u64_u32 v[8:9], null, s5, v85, v[6:7]
	v_mov_b32_e32 v4, v7
	v_lshlrev_b64 v[3:4], 3, v[3:4]
	v_mov_b32_e32 v6, v8
	ds_read2_b64 v[7:10], v0 offset0:129 offset1:206
	v_lshlrev_b64 v[5:6], 3, v[5:6]
	v_add_co_u32 v3, vcc_lo, s12, v3
	v_add_co_ci_u32_e32 v4, vcc_lo, s13, v4, vcc_lo
	v_add_co_u32 v55, vcc_lo, v3, v5
	v_add_co_ci_u32_e32 v56, vcc_lo, v4, v6, vcc_lo
	ds_read2_b64 v[3:6], v90 offset0:77 offset1:154
	v_add_co_u32 v57, vcc_lo, v55, s4
	v_add_co_ci_u32_e32 v58, vcc_lo, s3, v56, vcc_lo
	v_add_co_u32 v59, vcc_lo, v57, s4
	v_add_co_ci_u32_e32 v60, vcc_lo, s3, v58, vcc_lo
	;; [unrolled: 2-line block ×9, first 2 shown]
	s_waitcnt vmcnt(11) lgkmcnt(5)
	v_mul_f32_e32 v2, v54, v28
	s_waitcnt vmcnt(10) lgkmcnt(0)
	v_mul_f32_e32 v73, v4, v30
	s_waitcnt vmcnt(9)
	v_mul_f32_e32 v74, v6, v32
	v_mul_f32_e32 v32, v5, v32
	s_waitcnt vmcnt(8)
	v_mul_f32_e32 v75, v16, v34
	v_mul_f32_e32 v28, v53, v28
	;; [unrolled: 1-line block ×3, first 2 shown]
	v_fmac_f32_e32 v73, v3, v29
	v_fma_f32 v6, v31, v6, -v32
	v_mul_f32_e32 v30, v3, v30
	v_fmac_f32_e32 v74, v5, v31
	v_fmac_f32_e32 v75, v15, v33
	;; [unrolled: 1-line block ×3, first 2 shown]
	v_cvt_f64_f32_e32 v[31:32], v6
	v_fma_f32 v27, v27, v54, -v28
	v_fma_f32 v53, v33, v16, -v34
	s_waitcnt vmcnt(7)
	v_mul_f32_e32 v6, v18, v36
	v_mul_f32_e32 v36, v17, v36
	v_cvt_f64_f32_e32 v[15:16], v73
	s_waitcnt vmcnt(6)
	v_mul_f32_e32 v73, v8, v38
	v_mul_f32_e32 v38, v7, v38
	v_fma_f32 v28, v29, v4, -v30
	v_cvt_f64_f32_e32 v[29:30], v74
	s_waitcnt vmcnt(5)
	v_mul_f32_e32 v74, v10, v40
	v_mul_f32_e32 v40, v9, v40
	v_cvt_f64_f32_e32 v[33:34], v75
	s_waitcnt vmcnt(4)
	v_mul_f32_e32 v75, v12, v42
	v_mul_f32_e32 v42, v11, v42
	s_waitcnt vmcnt(3)
	v_mul_f32_e32 v76, v14, v46
	v_mul_f32_e32 v46, v13, v46
	;; [unrolled: 3-line block ×3, first 2 shown]
	v_fmac_f32_e32 v6, v17, v35
	v_fma_f32 v17, v35, v18, -v36
	v_cvt_f64_f32_e32 v[2:3], v2
	v_cvt_f64_f32_e32 v[4:5], v27
	s_waitcnt vmcnt(1)
	v_mul_f32_e32 v78, v26, v50
	v_mul_f32_e32 v50, v25, v50
	v_fmac_f32_e32 v73, v7, v37
	v_fma_f32 v18, v37, v8, -v38
	v_cvt_f64_f32_e32 v[27:28], v28
	s_waitcnt vmcnt(0)
	v_mul_f32_e32 v79, v20, v52
	v_mul_f32_e32 v52, v19, v52
	v_fmac_f32_e32 v74, v9, v39
	v_fma_f32 v35, v39, v10, -v40
	v_fmac_f32_e32 v75, v11, v41
	v_fma_f32 v36, v41, v12, -v42
	v_cvt_f64_f32_e32 v[53:54], v53
	v_fmac_f32_e32 v76, v13, v45
	v_fma_f32 v14, v45, v14, -v46
	v_fmac_f32_e32 v77, v23, v47
	v_fma_f32 v41, v47, v24, -v48
	v_cvt_f64_f32_e32 v[6:7], v6
	v_cvt_f64_f32_e32 v[8:9], v17
	v_fmac_f32_e32 v78, v25, v49
	v_fma_f32 v47, v49, v26, -v50
	v_cvt_f64_f32_e32 v[10:11], v73
	v_cvt_f64_f32_e32 v[12:13], v18
	;; [unrolled: 4-line block ×3, first 2 shown]
	v_cvt_f64_f32_e32 v[23:24], v75
	v_cvt_f64_f32_e32 v[25:26], v36
	;; [unrolled: 1-line block ×10, first 2 shown]
	v_mul_f64 v[2:3], v[2:3], s[0:1]
	v_mul_f64 v[4:5], v[4:5], s[0:1]
	;; [unrolled: 1-line block ×24, first 2 shown]
	v_cvt_f32_f64_e32 v2, v[2:3]
	v_cvt_f32_f64_e32 v3, v[4:5]
	v_cvt_f32_f64_e32 v4, v[14:15]
	v_cvt_f32_f64_e32 v5, v[27:28]
	v_cvt_f32_f64_e32 v14, v[29:30]
	v_cvt_f32_f64_e32 v15, v[31:32]
	v_cvt_f32_f64_e32 v27, v[33:34]
	v_cvt_f32_f64_e32 v28, v[53:54]
	v_cvt_f32_f64_e32 v6, v[6:7]
	v_cvt_f32_f64_e32 v7, v[8:9]
	v_cvt_f32_f64_e32 v8, v[10:11]
	v_cvt_f32_f64_e32 v9, v[12:13]
	v_cvt_f32_f64_e32 v10, v[16:17]
	v_cvt_f32_f64_e32 v11, v[18:19]
	v_cvt_f32_f64_e32 v12, v[23:24]
	v_cvt_f32_f64_e32 v13, v[25:26]
	v_cvt_f32_f64_e32 v16, v[35:36]
	v_cvt_f32_f64_e32 v17, v[37:38]
	v_cvt_f32_f64_e32 v18, v[39:40]
	v_cvt_f32_f64_e32 v19, v[41:42]
	v_cvt_f32_f64_e32 v23, v[45:46]
	v_cvt_f32_f64_e32 v24, v[47:48]
	v_cvt_f32_f64_e32 v25, v[49:50]
	v_cvt_f32_f64_e32 v26, v[51:52]
	v_add_co_u32 v29, vcc_lo, v71, s4
	v_add_co_ci_u32_e32 v30, vcc_lo, s3, v72, vcc_lo
	v_add_co_u32 v31, vcc_lo, v29, s4
	v_add_co_ci_u32_e32 v32, vcc_lo, s3, v30, vcc_lo
	global_store_dwordx2 v[55:56], v[2:3], off
	global_store_dwordx2 v[57:58], v[4:5], off
	;; [unrolled: 1-line block ×12, first 2 shown]
	global_load_dwordx2 v[0:1], v[43:44], off offset:1248
	s_waitcnt vmcnt(0)
	v_mul_f32_e32 v2, v22, v1
	v_mul_f32_e32 v1, v21, v1
	v_fmac_f32_e32 v2, v21, v0
	v_fma_f32 v3, v0, v22, -v1
	v_cvt_f64_f32_e32 v[0:1], v2
	v_cvt_f64_f32_e32 v[2:3], v3
	v_mul_f64 v[0:1], v[0:1], s[0:1]
	v_mul_f64 v[2:3], v[2:3], s[0:1]
	v_cvt_f32_f64_e32 v0, v[0:1]
	v_cvt_f32_f64_e32 v1, v[2:3]
	v_add_co_u32 v2, vcc_lo, v31, s4
	v_add_co_ci_u32_e32 v3, vcc_lo, s3, v32, vcc_lo
	global_store_dwordx2 v[2:3], v[0:1], off
.LBB0_23:
	s_endpgm
	.section	.rodata,"a",@progbits
	.p2align	6, 0x0
	.amdhsa_kernel bluestein_single_back_len1001_dim1_sp_op_CI_CI
		.amdhsa_group_segment_fixed_size 16016
		.amdhsa_private_segment_fixed_size 0
		.amdhsa_kernarg_size 104
		.amdhsa_user_sgpr_count 6
		.amdhsa_user_sgpr_private_segment_buffer 1
		.amdhsa_user_sgpr_dispatch_ptr 0
		.amdhsa_user_sgpr_queue_ptr 0
		.amdhsa_user_sgpr_kernarg_segment_ptr 1
		.amdhsa_user_sgpr_dispatch_id 0
		.amdhsa_user_sgpr_flat_scratch_init 0
		.amdhsa_user_sgpr_private_segment_size 0
		.amdhsa_wavefront_size32 1
		.amdhsa_uses_dynamic_stack 0
		.amdhsa_system_sgpr_private_segment_wavefront_offset 0
		.amdhsa_system_sgpr_workgroup_id_x 1
		.amdhsa_system_sgpr_workgroup_id_y 0
		.amdhsa_system_sgpr_workgroup_id_z 0
		.amdhsa_system_sgpr_workgroup_info 0
		.amdhsa_system_vgpr_workitem_id 0
		.amdhsa_next_free_vgpr 232
		.amdhsa_next_free_sgpr 16
		.amdhsa_reserve_vcc 1
		.amdhsa_reserve_flat_scratch 0
		.amdhsa_float_round_mode_32 0
		.amdhsa_float_round_mode_16_64 0
		.amdhsa_float_denorm_mode_32 3
		.amdhsa_float_denorm_mode_16_64 3
		.amdhsa_dx10_clamp 1
		.amdhsa_ieee_mode 1
		.amdhsa_fp16_overflow 0
		.amdhsa_workgroup_processor_mode 1
		.amdhsa_memory_ordered 1
		.amdhsa_forward_progress 0
		.amdhsa_shared_vgpr_count 0
		.amdhsa_exception_fp_ieee_invalid_op 0
		.amdhsa_exception_fp_denorm_src 0
		.amdhsa_exception_fp_ieee_div_zero 0
		.amdhsa_exception_fp_ieee_overflow 0
		.amdhsa_exception_fp_ieee_underflow 0
		.amdhsa_exception_fp_ieee_inexact 0
		.amdhsa_exception_int_div_zero 0
	.end_amdhsa_kernel
	.text
.Lfunc_end0:
	.size	bluestein_single_back_len1001_dim1_sp_op_CI_CI, .Lfunc_end0-bluestein_single_back_len1001_dim1_sp_op_CI_CI
                                        ; -- End function
	.section	.AMDGPU.csdata,"",@progbits
; Kernel info:
; codeLenInByte = 17412
; NumSgprs: 18
; NumVgprs: 232
; ScratchSize: 0
; MemoryBound: 0
; FloatMode: 240
; IeeeMode: 1
; LDSByteSize: 16016 bytes/workgroup (compile time only)
; SGPRBlocks: 2
; VGPRBlocks: 28
; NumSGPRsForWavesPerEU: 18
; NumVGPRsForWavesPerEU: 232
; Occupancy: 4
; WaveLimiterHint : 1
; COMPUTE_PGM_RSRC2:SCRATCH_EN: 0
; COMPUTE_PGM_RSRC2:USER_SGPR: 6
; COMPUTE_PGM_RSRC2:TRAP_HANDLER: 0
; COMPUTE_PGM_RSRC2:TGID_X_EN: 1
; COMPUTE_PGM_RSRC2:TGID_Y_EN: 0
; COMPUTE_PGM_RSRC2:TGID_Z_EN: 0
; COMPUTE_PGM_RSRC2:TIDIG_COMP_CNT: 0
	.text
	.p2alignl 6, 3214868480
	.fill 48, 4, 3214868480
	.type	__hip_cuid_f901c4b064382d9c,@object ; @__hip_cuid_f901c4b064382d9c
	.section	.bss,"aw",@nobits
	.globl	__hip_cuid_f901c4b064382d9c
__hip_cuid_f901c4b064382d9c:
	.byte	0                               ; 0x0
	.size	__hip_cuid_f901c4b064382d9c, 1

	.ident	"AMD clang version 19.0.0git (https://github.com/RadeonOpenCompute/llvm-project roc-6.4.0 25133 c7fe45cf4b819c5991fe208aaa96edf142730f1d)"
	.section	".note.GNU-stack","",@progbits
	.addrsig
	.addrsig_sym __hip_cuid_f901c4b064382d9c
	.amdgpu_metadata
---
amdhsa.kernels:
  - .args:
      - .actual_access:  read_only
        .address_space:  global
        .offset:         0
        .size:           8
        .value_kind:     global_buffer
      - .actual_access:  read_only
        .address_space:  global
        .offset:         8
        .size:           8
        .value_kind:     global_buffer
      - .actual_access:  read_only
        .address_space:  global
        .offset:         16
        .size:           8
        .value_kind:     global_buffer
      - .actual_access:  read_only
        .address_space:  global
        .offset:         24
        .size:           8
        .value_kind:     global_buffer
      - .actual_access:  read_only
        .address_space:  global
        .offset:         32
        .size:           8
        .value_kind:     global_buffer
      - .offset:         40
        .size:           8
        .value_kind:     by_value
      - .address_space:  global
        .offset:         48
        .size:           8
        .value_kind:     global_buffer
      - .address_space:  global
        .offset:         56
        .size:           8
        .value_kind:     global_buffer
      - .address_space:  global
        .offset:         64
        .size:           8
        .value_kind:     global_buffer
      - .address_space:  global
        .offset:         72
        .size:           8
        .value_kind:     global_buffer
      - .offset:         80
        .size:           4
        .value_kind:     by_value
      - .address_space:  global
        .offset:         88
        .size:           8
        .value_kind:     global_buffer
      - .address_space:  global
        .offset:         96
        .size:           8
        .value_kind:     global_buffer
    .group_segment_fixed_size: 16016
    .kernarg_segment_align: 8
    .kernarg_segment_size: 104
    .language:       OpenCL C
    .language_version:
      - 2
      - 0
    .max_flat_workgroup_size: 182
    .name:           bluestein_single_back_len1001_dim1_sp_op_CI_CI
    .private_segment_fixed_size: 0
    .sgpr_count:     18
    .sgpr_spill_count: 0
    .symbol:         bluestein_single_back_len1001_dim1_sp_op_CI_CI.kd
    .uniform_work_group_size: 1
    .uses_dynamic_stack: false
    .vgpr_count:     232
    .vgpr_spill_count: 0
    .wavefront_size: 32
    .workgroup_processor_mode: 1
amdhsa.target:   amdgcn-amd-amdhsa--gfx1030
amdhsa.version:
  - 1
  - 2
...

	.end_amdgpu_metadata
